;; amdgpu-corpus repo=ROCm/rocFFT kind=compiled arch=gfx1201 opt=O3
	.text
	.amdgcn_target "amdgcn-amd-amdhsa--gfx1201"
	.amdhsa_code_object_version 6
	.protected	fft_rtc_back_len2250_factors_10_3_5_3_5_wgs_90_tpt_90_halfLds_dp_ip_CI_unitstride_sbrr_dirReg ; -- Begin function fft_rtc_back_len2250_factors_10_3_5_3_5_wgs_90_tpt_90_halfLds_dp_ip_CI_unitstride_sbrr_dirReg
	.globl	fft_rtc_back_len2250_factors_10_3_5_3_5_wgs_90_tpt_90_halfLds_dp_ip_CI_unitstride_sbrr_dirReg
	.p2align	8
	.type	fft_rtc_back_len2250_factors_10_3_5_3_5_wgs_90_tpt_90_halfLds_dp_ip_CI_unitstride_sbrr_dirReg,@function
fft_rtc_back_len2250_factors_10_3_5_3_5_wgs_90_tpt_90_halfLds_dp_ip_CI_unitstride_sbrr_dirReg: ; @fft_rtc_back_len2250_factors_10_3_5_3_5_wgs_90_tpt_90_halfLds_dp_ip_CI_unitstride_sbrr_dirReg
; %bb.0:
	s_clause 0x2
	s_load_b128 s[4:7], s[0:1], 0x0
	s_load_b64 s[8:9], s[0:1], 0x50
	s_load_b64 s[10:11], s[0:1], 0x18
	v_mul_u32_u24_e32 v1, 0x2d9, v0
	v_mov_b32_e32 v3, 0
	s_delay_alu instid0(VALU_DEP_2) | instskip(NEXT) | instid1(VALU_DEP_1)
	v_lshrrev_b32_e32 v1, 16, v1
	v_add_nc_u32_e32 v5, ttmp9, v1
	v_mov_b32_e32 v1, 0
	v_mov_b32_e32 v2, 0
	;; [unrolled: 1-line block ×3, first 2 shown]
	s_wait_kmcnt 0x0
	v_cmp_lt_u64_e64 s2, s[6:7], 2
	s_delay_alu instid0(VALU_DEP_1)
	s_and_b32 vcc_lo, exec_lo, s2
	s_cbranch_vccnz .LBB0_8
; %bb.1:
	s_load_b64 s[2:3], s[0:1], 0x10
	v_mov_b32_e32 v1, 0
	v_mov_b32_e32 v2, 0
	s_add_nc_u64 s[12:13], s[10:11], 8
	s_mov_b64 s[14:15], 1
	s_wait_kmcnt 0x0
	s_add_nc_u64 s[16:17], s[2:3], 8
	s_mov_b32 s3, 0
.LBB0_2:                                ; =>This Inner Loop Header: Depth=1
	s_load_b64 s[18:19], s[16:17], 0x0
                                        ; implicit-def: $vgpr7_vgpr8
	s_mov_b32 s2, exec_lo
	s_wait_kmcnt 0x0
	v_or_b32_e32 v4, s19, v6
	s_delay_alu instid0(VALU_DEP_1)
	v_cmpx_ne_u64_e32 0, v[3:4]
	s_wait_alu 0xfffe
	s_xor_b32 s20, exec_lo, s2
	s_cbranch_execz .LBB0_4
; %bb.3:                                ;   in Loop: Header=BB0_2 Depth=1
	s_cvt_f32_u32 s2, s18
	s_cvt_f32_u32 s21, s19
	s_sub_nc_u64 s[24:25], 0, s[18:19]
	s_wait_alu 0xfffe
	s_delay_alu instid0(SALU_CYCLE_1) | instskip(SKIP_1) | instid1(SALU_CYCLE_2)
	s_fmamk_f32 s2, s21, 0x4f800000, s2
	s_wait_alu 0xfffe
	v_s_rcp_f32 s2, s2
	s_delay_alu instid0(TRANS32_DEP_1) | instskip(SKIP_1) | instid1(SALU_CYCLE_2)
	s_mul_f32 s2, s2, 0x5f7ffffc
	s_wait_alu 0xfffe
	s_mul_f32 s21, s2, 0x2f800000
	s_wait_alu 0xfffe
	s_delay_alu instid0(SALU_CYCLE_2) | instskip(SKIP_1) | instid1(SALU_CYCLE_2)
	s_trunc_f32 s21, s21
	s_wait_alu 0xfffe
	s_fmamk_f32 s2, s21, 0xcf800000, s2
	s_cvt_u32_f32 s23, s21
	s_wait_alu 0xfffe
	s_delay_alu instid0(SALU_CYCLE_1) | instskip(SKIP_1) | instid1(SALU_CYCLE_2)
	s_cvt_u32_f32 s22, s2
	s_wait_alu 0xfffe
	s_mul_u64 s[26:27], s[24:25], s[22:23]
	s_wait_alu 0xfffe
	s_mul_hi_u32 s29, s22, s27
	s_mul_i32 s28, s22, s27
	s_mul_hi_u32 s2, s22, s26
	s_mul_i32 s30, s23, s26
	s_wait_alu 0xfffe
	s_add_nc_u64 s[28:29], s[2:3], s[28:29]
	s_mul_hi_u32 s21, s23, s26
	s_mul_hi_u32 s31, s23, s27
	s_add_co_u32 s2, s28, s30
	s_wait_alu 0xfffe
	s_add_co_ci_u32 s2, s29, s21
	s_mul_i32 s26, s23, s27
	s_add_co_ci_u32 s27, s31, 0
	s_wait_alu 0xfffe
	s_add_nc_u64 s[26:27], s[2:3], s[26:27]
	s_wait_alu 0xfffe
	v_add_co_u32 v4, s2, s22, s26
	s_delay_alu instid0(VALU_DEP_1) | instskip(SKIP_1) | instid1(VALU_DEP_1)
	s_cmp_lg_u32 s2, 0
	s_add_co_ci_u32 s23, s23, s27
	v_readfirstlane_b32 s22, v4
	s_wait_alu 0xfffe
	s_delay_alu instid0(VALU_DEP_1)
	s_mul_u64 s[24:25], s[24:25], s[22:23]
	s_wait_alu 0xfffe
	s_mul_hi_u32 s27, s22, s25
	s_mul_i32 s26, s22, s25
	s_mul_hi_u32 s2, s22, s24
	s_mul_i32 s28, s23, s24
	s_wait_alu 0xfffe
	s_add_nc_u64 s[26:27], s[2:3], s[26:27]
	s_mul_hi_u32 s21, s23, s24
	s_mul_hi_u32 s22, s23, s25
	s_wait_alu 0xfffe
	s_add_co_u32 s2, s26, s28
	s_add_co_ci_u32 s2, s27, s21
	s_mul_i32 s24, s23, s25
	s_add_co_ci_u32 s25, s22, 0
	s_wait_alu 0xfffe
	s_add_nc_u64 s[24:25], s[2:3], s[24:25]
	s_wait_alu 0xfffe
	v_add_co_u32 v4, s2, v4, s24
	s_delay_alu instid0(VALU_DEP_1) | instskip(SKIP_1) | instid1(VALU_DEP_1)
	s_cmp_lg_u32 s2, 0
	s_add_co_ci_u32 s2, s23, s25
	v_mul_hi_u32 v13, v5, v4
	s_wait_alu 0xfffe
	v_mad_co_u64_u32 v[7:8], null, v5, s2, 0
	v_mad_co_u64_u32 v[9:10], null, v6, v4, 0
	;; [unrolled: 1-line block ×3, first 2 shown]
	s_delay_alu instid0(VALU_DEP_3) | instskip(SKIP_1) | instid1(VALU_DEP_4)
	v_add_co_u32 v4, vcc_lo, v13, v7
	s_wait_alu 0xfffd
	v_add_co_ci_u32_e32 v7, vcc_lo, 0, v8, vcc_lo
	s_delay_alu instid0(VALU_DEP_2) | instskip(SKIP_1) | instid1(VALU_DEP_2)
	v_add_co_u32 v4, vcc_lo, v4, v9
	s_wait_alu 0xfffd
	v_add_co_ci_u32_e32 v4, vcc_lo, v7, v10, vcc_lo
	s_wait_alu 0xfffd
	v_add_co_ci_u32_e32 v7, vcc_lo, 0, v12, vcc_lo
	s_delay_alu instid0(VALU_DEP_2) | instskip(SKIP_1) | instid1(VALU_DEP_2)
	v_add_co_u32 v4, vcc_lo, v4, v11
	s_wait_alu 0xfffd
	v_add_co_ci_u32_e32 v9, vcc_lo, 0, v7, vcc_lo
	s_delay_alu instid0(VALU_DEP_2) | instskip(SKIP_1) | instid1(VALU_DEP_3)
	v_mul_lo_u32 v10, s19, v4
	v_mad_co_u64_u32 v[7:8], null, s18, v4, 0
	v_mul_lo_u32 v11, s18, v9
	s_delay_alu instid0(VALU_DEP_2) | instskip(NEXT) | instid1(VALU_DEP_2)
	v_sub_co_u32 v7, vcc_lo, v5, v7
	v_add3_u32 v8, v8, v11, v10
	s_delay_alu instid0(VALU_DEP_1) | instskip(SKIP_1) | instid1(VALU_DEP_1)
	v_sub_nc_u32_e32 v10, v6, v8
	s_wait_alu 0xfffd
	v_subrev_co_ci_u32_e64 v10, s2, s19, v10, vcc_lo
	v_add_co_u32 v11, s2, v4, 2
	s_wait_alu 0xf1ff
	v_add_co_ci_u32_e64 v12, s2, 0, v9, s2
	v_sub_co_u32 v13, s2, v7, s18
	v_sub_co_ci_u32_e32 v8, vcc_lo, v6, v8, vcc_lo
	s_wait_alu 0xf1ff
	v_subrev_co_ci_u32_e64 v10, s2, 0, v10, s2
	s_delay_alu instid0(VALU_DEP_3) | instskip(NEXT) | instid1(VALU_DEP_3)
	v_cmp_le_u32_e32 vcc_lo, s18, v13
	v_cmp_eq_u32_e64 s2, s19, v8
	s_wait_alu 0xfffd
	v_cndmask_b32_e64 v13, 0, -1, vcc_lo
	v_cmp_le_u32_e32 vcc_lo, s19, v10
	s_wait_alu 0xfffd
	v_cndmask_b32_e64 v14, 0, -1, vcc_lo
	v_cmp_le_u32_e32 vcc_lo, s18, v7
	;; [unrolled: 3-line block ×3, first 2 shown]
	s_wait_alu 0xfffd
	v_cndmask_b32_e64 v15, 0, -1, vcc_lo
	v_cmp_eq_u32_e32 vcc_lo, s19, v10
	s_wait_alu 0xf1ff
	s_delay_alu instid0(VALU_DEP_2)
	v_cndmask_b32_e64 v7, v15, v7, s2
	s_wait_alu 0xfffd
	v_cndmask_b32_e32 v10, v14, v13, vcc_lo
	v_add_co_u32 v13, vcc_lo, v4, 1
	s_wait_alu 0xfffd
	v_add_co_ci_u32_e32 v14, vcc_lo, 0, v9, vcc_lo
	s_delay_alu instid0(VALU_DEP_3) | instskip(SKIP_2) | instid1(VALU_DEP_3)
	v_cmp_ne_u32_e32 vcc_lo, 0, v10
	s_wait_alu 0xfffd
	v_cndmask_b32_e32 v10, v13, v11, vcc_lo
	v_cndmask_b32_e32 v8, v14, v12, vcc_lo
	v_cmp_ne_u32_e32 vcc_lo, 0, v7
	s_wait_alu 0xfffd
	s_delay_alu instid0(VALU_DEP_2)
	v_dual_cndmask_b32 v7, v4, v10 :: v_dual_cndmask_b32 v8, v9, v8
.LBB0_4:                                ;   in Loop: Header=BB0_2 Depth=1
	s_wait_alu 0xfffe
	s_and_not1_saveexec_b32 s2, s20
	s_cbranch_execz .LBB0_6
; %bb.5:                                ;   in Loop: Header=BB0_2 Depth=1
	v_cvt_f32_u32_e32 v4, s18
	s_sub_co_i32 s20, 0, s18
	s_delay_alu instid0(VALU_DEP_1) | instskip(NEXT) | instid1(TRANS32_DEP_1)
	v_rcp_iflag_f32_e32 v4, v4
	v_mul_f32_e32 v4, 0x4f7ffffe, v4
	s_delay_alu instid0(VALU_DEP_1) | instskip(SKIP_1) | instid1(VALU_DEP_1)
	v_cvt_u32_f32_e32 v4, v4
	s_wait_alu 0xfffe
	v_mul_lo_u32 v7, s20, v4
	s_delay_alu instid0(VALU_DEP_1) | instskip(NEXT) | instid1(VALU_DEP_1)
	v_mul_hi_u32 v7, v4, v7
	v_add_nc_u32_e32 v4, v4, v7
	s_delay_alu instid0(VALU_DEP_1) | instskip(NEXT) | instid1(VALU_DEP_1)
	v_mul_hi_u32 v4, v5, v4
	v_mul_lo_u32 v7, v4, s18
	v_add_nc_u32_e32 v8, 1, v4
	s_delay_alu instid0(VALU_DEP_2) | instskip(NEXT) | instid1(VALU_DEP_1)
	v_sub_nc_u32_e32 v7, v5, v7
	v_subrev_nc_u32_e32 v9, s18, v7
	v_cmp_le_u32_e32 vcc_lo, s18, v7
	s_wait_alu 0xfffd
	s_delay_alu instid0(VALU_DEP_2) | instskip(NEXT) | instid1(VALU_DEP_1)
	v_dual_cndmask_b32 v7, v7, v9 :: v_dual_cndmask_b32 v4, v4, v8
	v_cmp_le_u32_e32 vcc_lo, s18, v7
	s_delay_alu instid0(VALU_DEP_2) | instskip(SKIP_1) | instid1(VALU_DEP_1)
	v_add_nc_u32_e32 v8, 1, v4
	s_wait_alu 0xfffd
	v_dual_cndmask_b32 v7, v4, v8 :: v_dual_mov_b32 v8, v3
.LBB0_6:                                ;   in Loop: Header=BB0_2 Depth=1
	s_wait_alu 0xfffe
	s_or_b32 exec_lo, exec_lo, s2
	s_load_b64 s[20:21], s[12:13], 0x0
	s_delay_alu instid0(VALU_DEP_1)
	v_mul_lo_u32 v4, v8, s18
	v_mul_lo_u32 v11, v7, s19
	v_mad_co_u64_u32 v[9:10], null, v7, s18, 0
	s_add_nc_u64 s[14:15], s[14:15], 1
	s_add_nc_u64 s[12:13], s[12:13], 8
	s_wait_alu 0xfffe
	v_cmp_ge_u64_e64 s2, s[14:15], s[6:7]
	s_add_nc_u64 s[16:17], s[16:17], 8
	s_delay_alu instid0(VALU_DEP_2) | instskip(NEXT) | instid1(VALU_DEP_3)
	v_add3_u32 v4, v10, v11, v4
	v_sub_co_u32 v5, vcc_lo, v5, v9
	s_wait_alu 0xfffd
	s_delay_alu instid0(VALU_DEP_2) | instskip(SKIP_3) | instid1(VALU_DEP_2)
	v_sub_co_ci_u32_e32 v4, vcc_lo, v6, v4, vcc_lo
	s_and_b32 vcc_lo, exec_lo, s2
	s_wait_kmcnt 0x0
	v_mul_lo_u32 v6, s21, v5
	v_mul_lo_u32 v4, s20, v4
	v_mad_co_u64_u32 v[1:2], null, s20, v5, v[1:2]
	s_delay_alu instid0(VALU_DEP_1)
	v_add3_u32 v2, v6, v2, v4
	s_wait_alu 0xfffe
	s_cbranch_vccnz .LBB0_9
; %bb.7:                                ;   in Loop: Header=BB0_2 Depth=1
	v_dual_mov_b32 v5, v7 :: v_dual_mov_b32 v6, v8
	s_branch .LBB0_2
.LBB0_8:
	v_dual_mov_b32 v8, v6 :: v_dual_mov_b32 v7, v5
.LBB0_9:
	s_lshl_b64 s[2:3], s[6:7], 3
	v_mul_hi_u32 v5, 0x2d82d83, v0
	s_wait_alu 0xfffe
	s_add_nc_u64 s[2:3], s[10:11], s[2:3]
                                        ; implicit-def: $vgpr106_vgpr107
                                        ; implicit-def: $vgpr18_vgpr19
                                        ; implicit-def: $vgpr110_vgpr111
                                        ; implicit-def: $vgpr14_vgpr15
                                        ; implicit-def: $vgpr118_vgpr119
                                        ; implicit-def: $vgpr10_vgpr11
                                        ; implicit-def: $vgpr114_vgpr115
                                        ; implicit-def: $vgpr102_vgpr103
                                        ; implicit-def: $vgpr26_vgpr27
                                        ; implicit-def: $vgpr22_vgpr23
                                        ; implicit-def: $vgpr46_vgpr47
                                        ; implicit-def: $vgpr42_vgpr43
                                        ; implicit-def: $vgpr70_vgpr71
                                        ; implicit-def: $vgpr58_vgpr59
                                        ; implicit-def: $vgpr90_vgpr91
                                        ; implicit-def: $vgpr50_vgpr51
                                        ; implicit-def: $vgpr86_vgpr87
                                        ; implicit-def: $vgpr66_vgpr67
                                        ; implicit-def: $vgpr38_vgpr39
                                        ; implicit-def: $vgpr30_vgpr31
                                        ; implicit-def: $vgpr62_vgpr63
                                        ; implicit-def: $vgpr54_vgpr55
                                        ; implicit-def: $vgpr82_vgpr83
                                        ; implicit-def: $vgpr78_vgpr79
                                        ; implicit-def: $vgpr98_vgpr99
                                        ; implicit-def: $vgpr74_vgpr75
                                        ; implicit-def: $vgpr94_vgpr95
                                        ; implicit-def: $vgpr34_vgpr35
	s_load_b64 s[2:3], s[2:3], 0x0
	s_load_b64 s[0:1], s[0:1], 0x20
	s_wait_kmcnt 0x0
	v_mul_lo_u32 v3, s2, v8
	v_mul_lo_u32 v4, s3, v7
	v_mad_co_u64_u32 v[1:2], null, s2, v7, v[1:2]
	v_cmp_gt_u64_e32 vcc_lo, s[0:1], v[7:8]
                                        ; implicit-def: $vgpr6_vgpr7
	s_delay_alu instid0(VALU_DEP_2) | instskip(SKIP_1) | instid1(VALU_DEP_2)
	v_add3_u32 v2, v4, v2, v3
	v_mul_u32_u24_e32 v3, 0x5a, v5
	v_lshlrev_b64_e32 v[1:2], 4, v[1:2]
	s_delay_alu instid0(VALU_DEP_2)
	v_sub_nc_u32_e32 v174, v0, v3
	scratch_store_b64 off, v[1:2], off offset:16 ; 8-byte Folded Spill
                                        ; implicit-def: $vgpr2_vgpr3
	s_and_saveexec_b32 s1, vcc_lo
	s_cbranch_execz .LBB0_13
; %bb.10:
	scratch_load_b64 v[2:3], off, off offset:16 ; 8-byte Folded Reload
	v_mov_b32_e32 v175, 0
	s_mov_b32 s2, exec_lo
                                        ; implicit-def: $vgpr100_vgpr101
                                        ; implicit-def: $vgpr4_vgpr5
                                        ; implicit-def: $vgpr112_vgpr113
                                        ; implicit-def: $vgpr8_vgpr9
                                        ; implicit-def: $vgpr116_vgpr117
                                        ; implicit-def: $vgpr12_vgpr13
                                        ; implicit-def: $vgpr108_vgpr109
                                        ; implicit-def: $vgpr16_vgpr17
                                        ; implicit-def: $vgpr104_vgpr105
	s_delay_alu instid0(VALU_DEP_1) | instskip(SKIP_4) | instid1(VALU_DEP_2)
	v_lshlrev_b64_e32 v[0:1], 4, v[174:175]
	s_wait_loadcnt 0x0
	v_add_co_u32 v2, s0, s8, v2
	s_wait_alu 0xf1ff
	v_add_co_ci_u32_e64 v3, s0, s9, v3, s0
	v_add_co_u32 v106, s0, v2, v0
	s_wait_alu 0xf1ff
	s_delay_alu instid0(VALU_DEP_2)
	v_add_co_ci_u32_e64 v107, s0, v3, v1, s0
                                        ; implicit-def: $vgpr0_vgpr1
	s_clause 0x13
	global_load_b128 v[32:35], v[106:107], off
	global_load_b128 v[64:67], v[106:107], off offset:1440
	global_load_b128 v[92:95], v[106:107], off offset:3600
	;; [unrolled: 1-line block ×19, first 2 shown]
	v_cmpx_gt_u32_e32 45, v174
; %bb.11:
	s_clause 0x9
	global_load_b128 v[0:3], v[106:107], off offset:2880
	global_load_b128 v[100:103], v[106:107], off offset:6480
	;; [unrolled: 1-line block ×10, first 2 shown]
; %bb.12:
	s_wait_alu 0xfffe
	s_or_b32 exec_lo, exec_lo, s2
.LBB0_13:
	s_wait_alu 0xfffe
	s_or_b32 exec_lo, exec_lo, s1
	s_wait_loadcnt 0x7
	v_add_f64_e32 v[130:131], v[52:53], v[76:77]
	s_wait_loadcnt 0x3
	v_add_f64_e32 v[132:133], v[28:29], v[72:73]
	v_add_f64_e32 v[134:135], v[62:63], v[82:83]
	s_wait_loadcnt 0x1
	v_add_f64_e32 v[136:137], v[38:39], v[98:99]
	v_add_f64_e32 v[154:155], v[60:61], v[80:81]
	v_add_f64_e64 v[120:121], v[74:75], -v[30:31]
	v_add_f64_e32 v[156:157], v[46:47], v[70:71]
	s_wait_loadcnt 0x0
	v_add_f64_e32 v[158:159], v[26:27], v[90:91]
	v_add_f64_e64 v[160:161], v[78:79], -v[54:55]
	v_add_f64_e32 v[162:163], v[36:37], v[96:97]
	v_add_f64_e32 v[166:167], v[110:111], v[118:119]
	v_add_f64_e64 v[170:171], v[96:97], -v[36:37]
	v_add_f64_e64 v[172:173], v[80:81], -v[60:61]
	s_mov_b32 s2, 0x134454ff
	s_mov_b32 s3, 0xbfee6f0e
	;; [unrolled: 1-line block ×3, first 2 shown]
	s_wait_alu 0xfffe
	s_mov_b32 s10, s2
	v_add_f64_e64 v[138:139], v[72:73], -v[76:77]
	v_add_f64_e64 v[140:141], v[28:29], -v[52:53]
	;; [unrolled: 1-line block ×14, first 2 shown]
	v_add_f64_e32 v[178:179], v[72:73], v[32:33]
	v_add_f64_e32 v[96:97], v[96:97], v[92:93]
	v_add_f64_e64 v[180:181], v[20:21], -v[40:41]
	v_add_f64_e64 v[182:183], v[56:57], -v[48:49]
	;; [unrolled: 1-line block ×3, first 2 shown]
	v_add_f64_e32 v[192:193], v[40:41], v[56:57]
	v_add_f64_e32 v[196:197], v[20:21], v[48:49]
	v_fma_f64 v[130:131], v[130:131], -0.5, v[32:33]
	v_fma_f64 v[132:133], v[132:133], -0.5, v[32:33]
	;; [unrolled: 1-line block ×4, first 2 shown]
	v_add_f64_e64 v[32:33], v[48:49], -v[56:57]
	v_fma_f64 v[154:155], v[154:155], -0.5, v[92:93]
	v_add_f64_e32 v[202:203], v[44:45], v[68:69]
	v_add_f64_e64 v[204:205], v[88:89], -v[24:25]
	v_fma_f64 v[156:157], v[156:157], -0.5, v[86:87]
	v_add_f64_e32 v[208:209], v[24:25], v[88:89]
	v_add_f64_e64 v[210:211], v[68:69], -v[44:45]
	v_fma_f64 v[158:159], v[158:159], -0.5, v[86:87]
	v_fma_f64 v[92:93], v[162:163], -0.5, v[92:93]
	v_add_f64_e64 v[162:163], v[112:113], -v[104:105]
	v_fma_f64 v[166:167], v[166:167], -0.5, v[102:103]
	v_add_f64_e32 v[230:231], v[108:109], v[116:117]
	s_mov_b32 s6, 0x4755a5e
	s_mov_b32 s7, 0xbfe2cf23
	;; [unrolled: 1-line block ×3, first 2 shown]
	s_wait_alu 0xfffe
	s_mov_b32 s12, s6
	v_add_f64_e64 v[186:187], v[88:89], -v[68:69]
	v_add_f64_e64 v[188:189], v[24:25], -v[44:45]
	;; [unrolled: 1-line block ×10, first 2 shown]
	v_add_f64_e32 v[138:139], v[140:141], v[138:139]
	v_add_f64_e64 v[140:141], v[114:115], -v[118:119]
	v_add_f64_e32 v[142:143], v[144:145], v[142:143]
	v_add_f64_e64 v[144:145], v[106:107], -v[110:111]
	;; [unrolled: 2-line block ×3, first 2 shown]
	v_add_f64_e32 v[150:151], v[152:153], v[150:151]
	v_fma_f64 v[152:153], v[192:193], -0.5, v[64:65]
	v_fma_f64 v[216:217], v[120:121], s[2:3], v[130:131]
	v_fma_f64 v[130:131], v[120:121], s[10:11], v[130:131]
	;; [unrolled: 1-line block ×8, first 2 shown]
	v_add_f64_e32 v[192:193], v[12:13], v[8:9]
	v_fma_f64 v[196:197], v[196:197], -0.5, v[64:65]
	v_add_f64_e32 v[124:125], v[128:129], v[124:125]
	v_fma_f64 v[128:129], v[164:165], s[2:3], v[154:155]
	v_fma_f64 v[154:155], v[164:165], s[10:11], v[154:155]
	v_fma_f64 v[202:203], v[202:203], -0.5, v[84:85]
	v_add_f64_e32 v[122:123], v[126:127], v[122:123]
	v_fma_f64 v[126:127], v[204:205], s[10:11], v[156:157]
	v_fma_f64 v[156:157], v[204:205], s[2:3], v[156:157]
	;; [unrolled: 4-line block ×3, first 2 shown]
	v_add_f64_e32 v[182:183], v[184:185], v[182:183]
	v_fma_f64 v[180:181], v[168:169], s[10:11], v[92:93]
	v_fma_f64 v[92:93], v[168:169], s[2:3], v[92:93]
	s_mov_b32 s14, 0x372fe950
	s_mov_b32 s15, 0x3fd3c6ef
	v_add_f64_e64 v[190:191], v[68:69], -v[88:89]
	v_add_f64_e64 v[194:195], v[44:45], -v[24:25]
	s_mov_b32 s0, 0x9b97f4a8
	s_mov_b32 s1, 0x3fe9e377
	;; [unrolled: 1-line block ×4, first 2 shown]
	s_wait_alu 0xfffe
	s_mov_b32 s16, s14
	v_add_f64_e32 v[140:141], v[144:145], v[140:141]
	s_mov_b32 s18, s0
	v_mul_u32_u24_e32 v175, 10, v174
	v_fma_f64 v[144:145], v[214:215], s[2:3], v[152:153]
	v_fma_f64 v[184:185], v[160:161], s[6:7], v[216:217]
	;; [unrolled: 1-line block ×6, first 2 shown]
	v_add_f64_e32 v[132:133], v[48:49], v[64:65]
	v_fma_f64 v[64:65], v[172:173], s[12:13], v[222:223]
	v_fma_f64 v[134:135], v[172:173], s[6:7], v[134:135]
	v_add_f64_e32 v[172:173], v[88:89], v[84:85]
	v_fma_f64 v[84:85], v[170:171], s[12:13], v[226:227]
	v_fma_f64 v[136:137], v[170:171], s[6:7], v[136:137]
	;; [unrolled: 1-line block ×3, first 2 shown]
	v_add_f64_e64 v[170:171], v[114:115], -v[106:107]
	v_fma_f64 v[218:219], v[230:231], -0.5, v[100:101]
	v_add_f64_e32 v[222:223], v[188:189], v[186:187]
	v_add_f64_e64 v[186:187], v[112:113], -v[116:117]
	v_add_f64_e32 v[188:189], v[200:201], v[198:199]
	v_add_f64_e64 v[198:199], v[104:105], -v[108:109]
	v_add_f64_e32 v[200:201], v[212:213], v[206:207]
	v_fma_f64 v[152:153], v[214:215], s[10:11], v[152:153]
	v_fma_f64 v[206:207], v[220:221], s[10:11], v[196:197]
	;; [unrolled: 1-line block ×13, first 2 shown]
	v_add_f64_e32 v[204:205], v[104:105], v[112:113]
	v_fma_f64 v[180:181], v[164:165], s[6:7], v[180:181]
	v_fma_f64 v[164:165], v[164:165], s[12:13], v[92:93]
	v_add_f64_e32 v[230:231], v[106:107], v[114:115]
	v_add_f64_e64 v[126:127], v[6:7], -v[18:19]
	v_fma_f64 v[144:145], v[220:221], s[6:7], v[144:145]
	v_fma_f64 v[234:235], v[138:139], s[14:15], v[184:185]
	;; [unrolled: 1-line block ×3, first 2 shown]
	v_fma_f64 v[130:131], v[192:193], -0.5, v[0:1]
	v_fma_f64 v[138:139], v[148:149], s[12:13], v[160:161]
	v_fma_f64 v[160:161], v[142:143], s[14:15], v[216:217]
	;; [unrolled: 1-line block ×5, first 2 shown]
	v_add_f64_e32 v[184:185], v[112:113], v[100:101]
	v_fma_f64 v[64:65], v[122:123], s[14:15], v[84:85]
	v_fma_f64 v[92:93], v[122:123], s[14:15], v[136:137]
	;; [unrolled: 1-line block ×3, first 2 shown]
	v_add_f64_e64 v[136:137], v[118:119], -v[110:111]
	v_fma_f64 v[134:135], v[170:171], s[2:3], v[218:219]
	v_fma_f64 v[142:143], v[170:171], s[10:11], v[218:219]
	v_add_f64_e32 v[166:167], v[4:5], v[0:1]
	v_add_f64_e32 v[124:125], v[194:195], v[190:191]
	;; [unrolled: 1-line block ×4, first 2 shown]
	v_fma_f64 v[152:153], v[220:221], s[12:13], v[152:153]
	v_fma_f64 v[194:195], v[214:215], s[6:7], v[206:207]
	;; [unrolled: 1-line block ×3, first 2 shown]
	v_add_f64_e32 v[132:133], v[56:57], v[132:133]
	v_add_f64_e32 v[198:199], v[198:199], v[186:187]
	v_fma_f64 v[206:207], v[228:229], s[6:7], v[128:129]
	v_fma_f64 v[168:169], v[228:229], s[12:13], v[168:169]
	;; [unrolled: 1-line block ×8, first 2 shown]
	v_add_f64_e32 v[156:157], v[68:69], v[172:173]
	v_add_f64_e64 v[158:159], v[4:5], -v[8:9]
	v_add_f64_e64 v[172:173], v[16:17], -v[12:13]
	;; [unrolled: 1-line block ×4, first 2 shown]
	v_fma_f64 v[204:205], v[204:205], -0.5, v[100:101]
	v_fma_f64 v[218:219], v[230:231], -0.5, v[102:103]
	v_add_f64_e64 v[128:129], v[10:11], -v[14:15]
	v_fma_f64 v[220:221], v[126:127], s[2:3], v[130:131]
	v_fma_f64 v[68:69], v[140:141], s[14:15], v[138:139]
	v_add_f64_e64 v[214:215], v[118:119], -v[114:115]
	v_add_f64_e64 v[216:217], v[110:111], -v[106:107]
	v_fma_f64 v[186:187], v[146:147], s[14:15], v[212:213]
	v_fma_f64 v[112:113], v[146:147], s[14:15], v[154:155]
	;; [unrolled: 1-line block ×4, first 2 shown]
	v_mul_f64_e32 v[146:147], s[6:7], v[32:33]
	v_fma_f64 v[100:101], v[140:141], s[14:15], v[122:123]
	v_fma_f64 v[122:123], v[126:127], s[10:11], v[130:131]
	;; [unrolled: 1-line block ×4, first 2 shown]
	v_add_f64_e32 v[138:139], v[8:9], v[166:167]
	v_add_f64_e32 v[140:141], v[116:117], v[184:185]
	;; [unrolled: 1-line block ×4, first 2 shown]
	v_mul_f64_e32 v[150:151], s[2:3], v[64:65]
	v_fma_f64 v[166:167], v[232:233], s[14:15], v[144:145]
	v_mul_f64_e32 v[144:145], s[2:3], v[92:93]
	v_fma_f64 v[224:225], v[182:183], s[14:15], v[194:195]
	v_fma_f64 v[196:197], v[182:183], s[14:15], v[196:197]
	;; [unrolled: 1-line block ×5, first 2 shown]
	v_mul_f64_e32 v[152:153], s[6:7], v[88:89]
	v_fma_f64 v[194:195], v[124:125], s[14:15], v[210:211]
	v_fma_f64 v[182:183], v[124:125], s[14:15], v[208:209]
	v_add_f64_e32 v[124:125], v[40:41], v[132:133]
	v_mul_f64_e32 v[132:133], s[6:7], v[80:81]
	v_add_f64_e32 v[44:45], v[44:45], v[156:157]
	v_mul_f64_e32 v[154:155], s[2:3], v[84:85]
	;; [unrolled: 2-line block ×3, first 2 shown]
	v_add_f64_e32 v[201:202], v[202:203], v[200:201]
	v_fma_f64 v[168:169], v[136:137], s[10:11], v[204:205]
	v_fma_f64 v[136:137], v[136:137], s[2:3], v[204:205]
	;; [unrolled: 1-line block ×5, first 2 shown]
	v_mul_f64_e32 v[164:165], s[6:7], v[96:97]
	v_add_f64_e32 v[206:207], v[216:217], v[214:215]
	v_fma_f64 v[122:123], v[128:129], s[12:13], v[122:123]
	v_fma_f64 v[190:191], v[198:199], s[14:15], v[130:131]
	;; [unrolled: 1-line block ×3, first 2 shown]
	v_add_f64_e32 v[130:131], v[12:13], v[138:139]
	v_add_f64_e32 v[134:135], v[108:109], v[140:141]
	v_mul_f64_e32 v[138:139], s[6:7], v[100:101]
	v_mul_f64_e32 v[140:141], s[6:7], v[68:69]
	v_add_f64_e32 v[142:143], v[28:29], v[142:143]
	v_add_f64_e32 v[36:37], v[36:37], v[60:61]
	v_fma_f64 v[60:61], v[186:187], s[0:1], v[146:147]
	v_fma_f64 v[150:151], v[188:189], s[14:15], v[150:151]
	;; [unrolled: 1-line block ×3, first 2 shown]
	s_wait_alu 0xfffe
	v_fma_f64 v[208:209], v[112:113], s[18:19], v[152:153]
	v_add_f64_e32 v[124:125], v[20:21], v[124:125]
	v_add_f64_e32 v[24:25], v[24:25], v[44:45]
	v_fma_f64 v[44:45], v[192:193], s[0:1], v[132:133]
	v_fma_f64 v[210:211], v[194:195], s[14:15], v[154:155]
	;; [unrolled: 1-line block ×10, first 2 shown]
	v_add_f64_e32 v[130:131], v[16:17], v[130:131]
	v_add_f64_e32 v[134:135], v[104:105], v[134:135]
	v_fma_f64 v[104:105], v[184:185], s[18:19], v[138:139]
	v_fma_f64 v[136:137], v[190:191], s[0:1], v[140:141]
	v_cmp_gt_u32_e64 s1, 45, v174
	v_add_f64_e32 v[138:139], v[36:37], v[142:143]
	v_add_f64_e64 v[144:145], v[142:143], -v[36:37]
	v_add_f64_e32 v[140:141], v[234:235], v[60:61]
	v_add_f64_e64 v[146:147], v[234:235], -v[60:61]
	v_add_f64_e64 v[148:149], v[160:161], -v[150:151]
	v_add_f64_e32 v[150:151], v[160:161], v[150:151]
	v_add_f64_e32 v[152:153], v[120:121], v[198:199]
	v_add_f64_e64 v[154:155], v[120:121], -v[198:199]
	v_add_f64_e32 v[142:143], v[236:237], v[208:209]
	v_add_f64_e64 v[156:157], v[236:237], -v[208:209]
	;; [unrolled: 2-line block ×4, first 2 shown]
	v_add_f64_e32 v[170:171], v[224:225], v[210:211]
	v_fma_f64 v[60:61], v[201:202], s[14:15], v[218:219]
	v_fma_f64 v[24:25], v[201:202], s[14:15], v[220:221]
	;; [unrolled: 1-line block ×4, first 2 shown]
	v_add_f64_e32 v[172:173], v[196:197], v[214:215]
	v_add_f64_e32 v[162:163], v[212:213], v[216:217]
	v_add_f64_e64 v[168:169], v[224:225], -v[210:211]
	v_add_f64_e64 v[197:198], v[196:197], -v[214:215]
	;; [unrolled: 1-line block ×3, first 2 shown]
	v_lshl_add_u32 v196, v175, 3, 0
	ds_store_b128 v196, v[138:141]
	ds_store_b128 v196, v[150:153] offset:16
	ds_store_b128 v196, v[142:145] offset:32
	;; [unrolled: 1-line block ×9, first 2 shown]
	v_add_f64_e64 v[122:123], v[130:131], -v[134:135]
	v_add_f64_e32 v[120:121], v[108:109], v[104:105]
	v_add_f64_e64 v[124:125], v[132:133], -v[136:137]
	s_and_saveexec_b32 s0, s1
	s_cbranch_execz .LBB0_15
; %bb.14:
	v_add_f64_e32 v[138:139], v[16:17], v[4:5]
	v_add_f64_e64 v[140:141], v[12:13], -v[16:17]
	v_mul_f64_e32 v[144:145], s[2:3], v[36:37]
	v_add_f64_e32 v[132:133], v[132:133], v[136:137]
	v_add_f64_e32 v[130:131], v[134:135], v[130:131]
	v_fma_f64 v[0:1], v[138:139], -0.5, v[0:1]
	v_add_f64_e64 v[138:139], v[8:9], -v[4:5]
	s_delay_alu instid0(VALU_DEP_2) | instskip(SKIP_2) | instid1(VALU_DEP_4)
	v_fma_f64 v[142:143], v[128:129], s[2:3], v[0:1]
	v_fma_f64 v[0:1], v[128:129], s[10:11], v[0:1]
	v_mul_f64_e32 v[128:129], s[2:3], v[44:45]
	v_add_f64_e32 v[138:139], v[140:141], v[138:139]
	s_delay_alu instid0(VALU_DEP_4) | instskip(NEXT) | instid1(VALU_DEP_4)
	v_fma_f64 v[140:141], v[126:127], s[12:13], v[142:143]
	v_fma_f64 v[0:1], v[126:127], s[6:7], v[0:1]
	s_delay_alu instid0(VALU_DEP_4) | instskip(SKIP_1) | instid1(VALU_DEP_4)
	v_fma_f64 v[128:129], v[24:25], s[16:17], v[128:129]
	v_fma_f64 v[126:127], v[60:61], s[14:15], v[144:145]
	;; [unrolled: 1-line block ×3, first 2 shown]
	s_delay_alu instid0(VALU_DEP_4) | instskip(SKIP_1) | instid1(VALU_DEP_3)
	v_fma_f64 v[0:1], v[138:139], s[14:15], v[0:1]
	v_add_f64_e64 v[140:141], v[108:109], -v[104:105]
	v_add_f64_e32 v[136:137], v[142:143], v[128:129]
	s_delay_alu instid0(VALU_DEP_3)
	v_add_f64_e32 v[134:135], v[0:1], v[126:127]
	v_add_f64_e64 v[126:127], v[0:1], -v[126:127]
	v_add_f64_e64 v[138:139], v[142:143], -v[128:129]
	ds_store_b128 v196, v[130:133] offset:14400
	ds_store_b128 v196, v[134:137] offset:14416
	;; [unrolled: 1-line block ×5, first 2 shown]
.LBB0_15:
	s_wait_alu 0xfffe
	s_or_b32 exec_lo, exec_lo, s0
	v_mad_i32_i24 v175, 0xffffffb8, v174, v196
	global_wb scope:SCOPE_SE
	s_wait_storecnt_dscnt 0x0
	s_barrier_signal -1
	s_barrier_wait -1
	global_inv scope:SCOPE_SE
	v_add_nc_u32_e32 v0, 0x1400, v175
	v_add_nc_u32_e32 v1, 0x2c00, v175
	;; [unrolled: 1-line block ×5, first 2 shown]
	ds_load_2addr_b64 v[158:161], v0 offset0:110 offset1:200
	v_add_nc_u32_e32 v0, 0x3000, v175
	ds_load_2addr_b64 v[126:129], v175 offset1:90
	ds_load_2addr_b64 v[166:169], v1 offset0:92 offset1:182
	ds_load_2addr_b64 v[134:137], v104 offset0:52 offset1:142
	;; [unrolled: 1-line block ×5, first 2 shown]
	v_add_nc_u32_e32 v0, 0x2000, v175
	v_add_nc_u32_e32 v1, 0x3800, v175
	;; [unrolled: 1-line block ×5, first 2 shown]
	ds_load_2addr_b64 v[170:173], v0 offset0:86 offset1:176
	ds_load_2addr_b64 v[162:165], v1 offset0:68 offset1:158
	ds_load_2addr_b64 v[138:141], v104 offset0:28 offset1:118
	ds_load_2addr_b64 v[150:153], v105 offset0:10 offset1:100
	ds_load_2addr_b64 v[142:145], v108 offset0:120 offset1:210
	v_cmp_gt_u32_e64 s0, 30, v174
	s_delay_alu instid0(VALU_DEP_1)
	s_and_saveexec_b32 s2, s0
	s_cbranch_execz .LBB0_17
; %bb.16:
	ds_load_b64 v[120:121], v175 offset:5760
	ds_load_b64 v[122:123], v175 offset:11760
	;; [unrolled: 1-line block ×3, first 2 shown]
.LBB0_17:
	s_wait_alu 0xfffe
	s_or_b32 exec_lo, exec_lo, s2
	v_add_f64_e32 v[0:1], v[54:55], v[78:79]
	v_add_f64_e32 v[104:105], v[30:31], v[74:75]
	;; [unrolled: 1-line block ×6, first 2 shown]
	v_add_f64_e64 v[28:29], v[72:73], -v[28:29]
	v_add_f64_e64 v[52:53], v[76:77], -v[52:53]
	v_add_f64_e32 v[72:73], v[98:99], v[94:95]
	v_add_f64_e32 v[76:77], v[50:51], v[66:67]
	;; [unrolled: 1-line block ×5, first 2 shown]
	v_add_f64_e64 v[20:21], v[48:49], -v[20:21]
	v_add_f64_e64 v[40:41], v[56:57], -v[40:41]
	s_mov_b32 s2, 0x134454ff
	s_mov_b32 s3, 0x3fee6f0e
	;; [unrolled: 1-line block ×3, first 2 shown]
	s_wait_alu 0xfffe
	s_mov_b32 s6, s2
	v_add_f64_e64 v[102:103], v[30:31], -v[54:55]
	v_add_f64_e64 v[114:115], v[22:23], -v[42:43]
	s_mov_b32 s10, 0x4755a5e
	s_mov_b32 s12, 0x372fe950
	s_mov_b32 s16, 0x9b97f4a8
	s_mov_b32 s11, 0x3fe2cf23
	s_mov_b32 s13, 0x3fd3c6ef
	s_mov_b32 s15, 0xbfe2cf23
	s_mov_b32 s17, 0x3fe9e377
	s_wait_alu 0xfffe
	s_mov_b32 s14, s10
	v_mul_f64_e32 v[186:187], s[10:11], v[186:187]
	v_mul_f64_e32 v[92:93], s[12:13], v[92:93]
	;; [unrolled: 1-line block ×6, first 2 shown]
	v_add_nc_u32_e32 v241, 0xb4, v174
	global_wb scope:SCOPE_SE
	s_wait_dscnt 0x0
	s_barrier_signal -1
	v_fma_f64 v[98:99], v[0:1], -0.5, v[34:35]
	v_fma_f64 v[34:35], v[104:105], -0.5, v[34:35]
	;; [unrolled: 1-line block ×4, first 2 shown]
	v_add_f64_e64 v[0:1], v[4:5], -v[16:17]
	v_fma_f64 v[16:17], v[199:200], -0.5, v[2:3]
	v_add_f64_e64 v[66:67], v[74:75], -v[78:79]
	v_add_f64_e64 v[74:75], v[78:79], -v[74:75]
	;; [unrolled: 1-line block ×4, first 2 shown]
	v_add_f64_e32 v[78:79], v[78:79], v[201:202]
	v_add_f64_e32 v[72:73], v[82:83], v[72:73]
	;; [unrolled: 1-line block ×6, first 2 shown]
	v_add_f64_e64 v[50:51], v[58:59], -v[50:51]
	v_add_f64_e64 v[58:59], v[42:43], -v[22:23]
	;; [unrolled: 1-line block ×5, first 2 shown]
	s_barrier_wait -1
	global_inv scope:SCOPE_SE
	v_fma_f64 v[92:93], v[180:181], s[2:3], -v[92:93]
	v_fma_f64 v[88:89], v[112:113], s[10:11], -v[88:89]
	v_fma_f64 v[90:91], v[28:29], s[2:3], v[98:99]
	v_fma_f64 v[94:95], v[52:53], s[6:7], v[34:35]
	;; [unrolled: 1-line block ×10, first 2 shown]
	v_add_f64_e32 v[66:67], v[102:103], v[66:67]
	v_add_f64_e32 v[74:75], v[104:105], v[74:75]
	;; [unrolled: 1-line block ×8, first 2 shown]
	v_mul_f64_e32 v[82:83], s[16:17], v[96:97]
	v_add_f64_e32 v[50:51], v[58:59], v[50:51]
	v_add_f64_e32 v[86:87], v[114:115], v[108:109]
	v_fma_f64 v[76:77], v[52:53], s[10:11], v[90:91]
	v_fma_f64 v[78:79], v[28:29], s[10:11], v[94:95]
	s_wait_alu 0xfffe
	v_fma_f64 v[28:29], v[28:29], s[14:15], v[34:35]
	v_fma_f64 v[34:35], v[52:53], s[14:15], v[98:99]
	v_mul_f64_e32 v[52:53], s[12:13], v[178:179]
	v_fma_f64 v[58:59], v[40:41], s[10:11], v[118:119]
	v_fma_f64 v[90:91], v[20:21], s[10:11], v[197:198]
	;; [unrolled: 1-line block ×4, first 2 shown]
	v_mul_f64_e32 v[48:49], s[10:11], v[190:191]
	v_mul_f64_e32 v[56:57], s[16:17], v[100:101]
	v_add_f64_e32 v[94:95], v[12:13], v[8:9]
	v_fma_f64 v[96:97], v[4:5], s[14:15], v[199:200]
	v_fma_f64 v[16:17], v[4:5], s[10:11], v[16:17]
	;; [unrolled: 1-line block ×3, first 2 shown]
	v_add_f64_e32 v[54:55], v[30:31], v[54:55]
	v_add_f64_e32 v[62:63], v[38:39], v[62:63]
	;; [unrolled: 1-line block ×6, first 2 shown]
	v_fma_f64 v[102:103], v[116:117], s[10:11], -v[82:83]
	v_fma_f64 v[100:101], v[64:65], s[12:13], v[188:189]
	v_fma_f64 v[70:71], v[66:67], s[12:13], v[76:77]
	;; [unrolled: 1-line block ×6, first 2 shown]
	v_fma_f64 v[84:85], v[182:183], s[2:3], -v[52:53]
	v_fma_f64 v[82:83], v[50:51], s[12:13], v[90:91]
	v_fma_f64 v[20:21], v[50:51], s[12:13], v[20:21]
	;; [unrolled: 1-line block ×4, first 2 shown]
	v_fma_f64 v[26:27], v[184:185], s[10:11], -v[56:57]
	v_fma_f64 v[58:59], v[86:87], s[12:13], v[58:59]
	v_fma_f64 v[28:29], v[94:95], s[12:13], v[96:97]
	;; [unrolled: 1-line block ×4, first 2 shown]
	v_add_f64_e32 v[38:39], v[62:63], v[54:55]
	v_add_f64_e64 v[48:49], v[54:55], -v[62:63]
	v_add_f64_e32 v[50:51], v[42:43], v[22:23]
	v_add_f64_e64 v[56:57], v[22:23], -v[42:43]
	v_add_f64_e64 v[22:23], v[8:9], -v[12:13]
	v_add_f64_e32 v[40:41], v[70:71], v[98:99]
	v_add_f64_e64 v[66:67], v[70:71], -v[98:99]
	v_add_f64_e32 v[64:65], v[74:75], v[92:93]
	;; [unrolled: 2-line block ×4, first 2 shown]
	v_add_f64_e32 v[76:77], v[20:21], v[84:85]
	v_add_f64_e64 v[80:81], v[82:83], -v[80:81]
	v_add_f64_e64 v[82:83], v[20:21], -v[84:85]
	v_add_f64_e32 v[46:47], v[34:35], v[88:89]
	v_add_f64_e64 v[72:73], v[34:35], -v[88:89]
	v_add_f64_e32 v[20:21], v[28:29], v[26:27]
	;; [unrolled: 2-line block ×3, first 2 shown]
	v_add_f64_e32 v[54:55], v[86:87], v[102:103]
	v_add_f64_e64 v[78:79], v[58:59], -v[78:79]
	v_add_f64_e64 v[84:85], v[86:87], -v[102:103]
	ds_store_b128 v196, v[38:41]
	ds_store_b128 v196, v[62:65] offset:16
	ds_store_b128 v196, v[46:49] offset:32
	ds_store_b128 v196, v[66:69] offset:48
	ds_store_b128 v196, v[70:73] offset:64
	ds_store_b128 v196, v[50:53] offset:7200
	ds_store_b128 v196, v[74:77] offset:7216
	ds_store_b128 v196, v[54:57] offset:7232
	ds_store_b128 v196, v[78:81] offset:7248
	ds_store_b128 v196, v[82:85] offset:7264
	s_and_saveexec_b32 s16, s1
	s_cbranch_execz .LBB0_19
; %bb.18:
	v_add_f64_e32 v[34:35], v[18:19], v[6:7]
	v_add_f64_e64 v[6:7], v[10:11], -v[6:7]
	v_add_f64_e64 v[10:11], v[14:15], -v[18:19]
	v_mul_f64_e32 v[18:19], s[12:13], v[44:45]
	s_delay_alu instid0(VALU_DEP_4) | instskip(NEXT) | instid1(VALU_DEP_3)
	v_fma_f64 v[2:3], v[34:35], -0.5, v[2:3]
	v_add_f64_e32 v[6:7], v[10:11], v[6:7]
	s_delay_alu instid0(VALU_DEP_3) | instskip(NEXT) | instid1(VALU_DEP_3)
	v_fma_f64 v[24:25], v[24:25], s[2:3], -v[18:19]
	v_fma_f64 v[14:15], v[4:5], s[6:7], v[2:3]
	v_fma_f64 v[2:3], v[4:5], s[2:3], v[2:3]
	v_mul_f64_e32 v[4:5], s[2:3], v[60:61]
	s_delay_alu instid0(VALU_DEP_3) | instskip(NEXT) | instid1(VALU_DEP_3)
	v_fma_f64 v[10:11], v[0:1], s[10:11], v[14:15]
	v_fma_f64 v[0:1], v[0:1], s[14:15], v[2:3]
	s_delay_alu instid0(VALU_DEP_3) | instskip(SKIP_1) | instid1(VALU_DEP_4)
	v_fma_f64 v[14:15], v[36:37], s[12:13], v[4:5]
	v_add_f64_e32 v[2:3], v[32:33], v[30:31]
	v_fma_f64 v[18:19], v[6:7], s[12:13], v[10:11]
	s_delay_alu instid0(VALU_DEP_4) | instskip(SKIP_3) | instid1(VALU_DEP_1)
	v_fma_f64 v[34:35], v[6:7], s[12:13], v[0:1]
	v_add_f64_e32 v[0:1], v[12:13], v[8:9]
	v_add_f64_e64 v[10:11], v[28:29], -v[26:27]
	v_mul_u32_u24_e32 v12, 10, v241
	v_lshl_add_u32 v12, v12, 3, 0
	v_add_f64_e32 v[4:5], v[18:19], v[14:15]
	v_add_f64_e32 v[6:7], v[34:35], v[24:25]
	v_add_f64_e64 v[18:19], v[18:19], -v[14:15]
	v_add_f64_e64 v[8:9], v[34:35], -v[24:25]
	ds_store_b128 v12, v[0:3]
	ds_store_b128 v12, v[4:7] offset:16
	ds_store_b128 v12, v[20:23] offset:32
	;; [unrolled: 1-line block ×4, first 2 shown]
.LBB0_19:
	s_wait_alu 0xfffe
	s_or_b32 exec_lo, exec_lo, s16
	v_add_nc_u32_e32 v4, 0x1400, v175
	global_wb scope:SCOPE_SE
	s_wait_dscnt 0x0
	s_barrier_signal -1
	s_barrier_wait -1
	global_inv scope:SCOPE_SE
	ds_load_2addr_b64 v[0:3], v175 offset1:90
	ds_load_2addr_b64 v[32:35], v4 offset0:110 offset1:200
	v_add_nc_u32_e32 v4, 0x2c00, v175
	v_add_nc_u32_e32 v5, 0x400, v175
	;; [unrolled: 1-line block ×5, first 2 shown]
	ds_load_2addr_b64 v[36:39], v4 offset0:92 offset1:182
	ds_load_2addr_b64 v[8:11], v5 offset0:52 offset1:142
	;; [unrolled: 1-line block ×5, first 2 shown]
	v_add_nc_u32_e32 v12, 0x2000, v175
	v_add_nc_u32_e32 v13, 0x3800, v175
	;; [unrolled: 1-line block ×5, first 2 shown]
	ds_load_2addr_b64 v[52:55], v12 offset0:86 offset1:176
	ds_load_2addr_b64 v[48:51], v13 offset0:68 offset1:158
	;; [unrolled: 1-line block ×5, first 2 shown]
	s_and_saveexec_b32 s1, s0
	s_cbranch_execz .LBB0_21
; %bb.20:
	ds_load_b64 v[20:21], v175 offset:5760
	ds_load_b64 v[22:23], v175 offset:11760
	;; [unrolled: 1-line block ×3, first 2 shown]
.LBB0_21:
	s_wait_alu 0xfffe
	s_or_b32 exec_lo, exec_lo, s1
	v_add_nc_u32_e32 v244, 0x5a, v174
	v_and_b32_e32 v108, 0xff, v174
	v_and_b32_e32 v106, 0xffff, v241
	v_add_nc_u32_e32 v242, 0x10e, v174
	v_add_nc_u32_e32 v243, 0x168, v174
	v_and_b32_e32 v107, 0xff, v244
	v_mul_lo_u16 v18, 0xcd, v108
	v_add_nc_u32_e32 v69, 0x1c2, v174
	v_and_b32_e32 v104, 0xffff, v242
	v_add_nc_u32_e32 v67, 0x21c, v174
	v_mul_lo_u16 v19, 0xcd, v107
	v_lshrrev_b16 v119, 11, v18
	v_mul_u32_u24_e32 v18, 0xcccd, v106
	v_add_nc_u32_e32 v68, 0x276, v174
	v_add_nc_u32_e32 v66, 0x2d0, v174
	v_lshrrev_b16 v176, 11, v19
	v_mul_lo_u16 v19, v119, 10
	v_lshrrev_b32_e32 v177, 19, v18
	v_and_b32_e32 v105, 0xffff, v243
	v_and_b32_e32 v56, 0xffff, v69
	v_mul_lo_u16 v57, v176, 10
	v_sub_nc_u16 v18, v174, v19
	v_mul_lo_u16 v58, v177, 10
	v_and_b32_e32 v60, 0xffff, v67
	v_and_b32_e32 v19, 0xffff, v68
	v_sub_nc_u16 v57, v244, v57
	v_and_b32_e32 v178, 0xff, v18
	v_mul_u32_u24_e32 v18, 0xcccd, v104
	v_and_b32_e32 v61, 0xffff, v66
	v_mul_u32_u24_e32 v62, 0xcccd, v105
	v_and_b32_e32 v179, 0xff, v57
	v_sub_nc_u16 v57, v241, v58
	v_lshlrev_b32_e32 v63, 5, v178
	v_lshrrev_b32_e32 v180, 19, v18
	v_mul_u32_u24_e32 v64, 0xcccd, v56
	v_lshlrev_b32_e32 v65, 5, v179
	v_and_b32_e32 v181, 0xffff, v57
	v_mul_u32_u24_e32 v18, 0xcccd, v60
	s_clause 0x3
	global_load_b128 v[56:59], v63, s[4:5]
	global_load_b128 v[90:93], v63, s[4:5] offset:16
	global_load_b128 v[94:97], v65, s[4:5]
	global_load_b128 v[98:101], v65, s[4:5] offset:16
	v_mul_u32_u24_e32 v19, 0xcccd, v19
	v_mul_u32_u24_e32 v60, 0xcccd, v61
	v_mul_lo_u16 v61, v180, 10
	v_lshrrev_b32_e32 v182, 19, v62
	v_lshrrev_b32_e32 v184, 19, v18
	;; [unrolled: 1-line block ×4, first 2 shown]
	v_sub_nc_u16 v18, v242, v61
	v_mul_lo_u16 v19, v182, 10
	v_lshrrev_b32_e32 v234, 19, v60
	v_mul_lo_u16 v61, v185, 10
	v_mul_lo_u16 v60, v183, 10
	v_and_b32_e32 v235, 0xffff, v18
	v_mul_lo_u16 v18, v184, 10
	v_sub_nc_u16 v19, v243, v19
	v_lshlrev_b32_e32 v63, 5, v181
	v_sub_nc_u16 v60, v69, v60
	v_lshlrev_b32_e32 v62, 5, v235
	v_sub_nc_u16 v18, v67, v18
	v_and_b32_e32 v236, 0xffff, v19
	v_sub_nc_u16 v19, v68, v61
	v_mul_lo_u16 v61, v234, 10
	v_and_b32_e32 v237, 0xffff, v60
	v_and_b32_e32 v238, 0xffff, v18
	v_lshlrev_b32_e32 v60, 5, v236
	v_and_b32_e32 v239, 0xffff, v19
	v_sub_nc_u16 v18, v66, v61
	s_clause 0x3
	global_load_b128 v[109:112], v63, s[4:5] offset:16
	global_load_b128 v[113:116], v63, s[4:5]
	global_load_b128 v[186:189], v62, s[4:5] offset:16
	global_load_b128 v[190:193], v62, s[4:5]
	v_lshlrev_b32_e32 v62, 5, v237
	s_clause 0x2
	global_load_b128 v[194:197], v60, s[4:5] offset:16
	global_load_b128 v[198:201], v60, s[4:5]
	global_load_b128 v[202:205], v62, s[4:5]
	v_and_b32_e32 v240, 0xffff, v18
	v_lshlrev_b32_e32 v19, 5, v238
	v_lshlrev_b32_e32 v60, 5, v239
	s_clause 0x3
	global_load_b128 v[206:209], v62, s[4:5] offset:16
	global_load_b128 v[210:213], v19, s[4:5]
	global_load_b128 v[214:217], v60, s[4:5]
	global_load_b128 v[218:221], v19, s[4:5] offset:16
	v_lshlrev_b32_e32 v18, 5, v240
	s_clause 0x2
	global_load_b128 v[222:225], v60, s[4:5] offset:16
	global_load_b128 v[226:229], v18, s[4:5] offset:16
	global_load_b128 v[230:233], v18, s[4:5]
	s_mov_b32 s2, 0xe8584caa
	s_mov_b32 s3, 0xbfebb67a
	;; [unrolled: 1-line block ×3, first 2 shown]
	s_wait_alu 0xfffe
	s_mov_b32 s6, s2
	v_and_b32_e32 v119, 0xffff, v119
	s_delay_alu instid0(VALU_DEP_1)
	v_mul_u32_u24_e32 v119, 0xf0, v119
	s_wait_loadcnt_dscnt 0x110a
	v_mul_f64_e32 v[18:19], v[32:33], v[58:59]
	v_mul_f64_e32 v[58:59], v[158:159], v[58:59]
	s_wait_loadcnt 0xf
	v_mul_f64_e32 v[60:61], v[34:35], v[96:97]
	s_wait_dscnt 0x9
	v_mul_f64_e32 v[62:63], v[36:37], v[92:93]
	s_wait_loadcnt 0xe
	v_mul_f64_e32 v[64:65], v[38:39], v[100:101]
	v_mul_f64_e32 v[96:97], v[160:161], v[96:97]
	;; [unrolled: 1-line block ×4, first 2 shown]
	s_wait_loadcnt_dscnt 0xd06
	v_mul_f64_e32 v[70:71], v[44:45], v[111:112]
	s_wait_loadcnt 0xc
	v_mul_f64_e32 v[66:67], v[40:41], v[115:116]
	s_wait_loadcnt 0xa
	v_mul_f64_e32 v[68:69], v[42:43], v[192:193]
	v_mul_f64_e32 v[74:75], v[46:47], v[188:189]
	s_wait_loadcnt_dscnt 0x903
	v_mul_f64_e32 v[80:81], v[48:49], v[196:197]
	s_wait_loadcnt 0x8
	v_mul_f64_e32 v[76:77], v[52:53], v[200:201]
	s_wait_loadcnt 0x7
	v_mul_f64_e32 v[78:79], v[54:55], v[204:205]
	v_mul_f64_e32 v[115:116], v[154:155], v[115:116]
	v_fma_f64 v[18:19], v[158:159], v[56:57], v[18:19]
	v_fma_f64 v[32:33], v[32:33], v[56:57], -v[58:59]
	s_wait_loadcnt 0x6
	v_mul_f64_e32 v[82:83], v[50:51], v[208:209]
	s_wait_loadcnt_dscnt 0x501
	v_mul_f64_e32 v[84:85], v[28:29], v[212:213]
	s_wait_loadcnt 0x4
	v_mul_f64_e32 v[86:87], v[30:31], v[216:217]
	s_wait_loadcnt_dscnt 0x300
	v_mul_f64_e32 v[88:89], v[24:25], v[220:221]
	v_fma_f64 v[56:57], v[160:161], v[94:95], v[60:61]
	v_fma_f64 v[72:73], v[166:167], v[90:91], v[62:63]
	v_fma_f64 v[58:59], v[168:169], v[98:99], v[64:65]
	s_wait_loadcnt 0x1
	v_mul_f64_e32 v[117:118], v[16:17], v[228:229]
	s_wait_loadcnt 0x0
	v_mul_f64_e32 v[158:159], v[22:23], v[232:233]
	v_mul_f64_e32 v[111:112], v[146:147], v[111:112]
	;; [unrolled: 1-line block ×4, first 2 shown]
	v_fma_f64 v[36:37], v[36:37], v[90:91], -v[92:93]
	v_fma_f64 v[92:93], v[34:35], v[94:95], -v[96:97]
	;; [unrolled: 1-line block ×3, first 2 shown]
	v_mul_u32_u24_e32 v166, 0xf0, v180
	v_mul_u32_u24_e32 v167, 0xf0, v182
	;; [unrolled: 1-line block ×4, first 2 shown]
	v_fma_f64 v[62:63], v[154:155], v[113:114], v[66:67]
	v_fma_f64 v[60:61], v[156:157], v[190:191], v[68:69]
	v_mul_f64_e32 v[154:155], v[156:157], v[192:193]
	v_fma_f64 v[68:69], v[146:147], v[109:110], v[70:71]
	v_fma_f64 v[64:65], v[148:149], v[186:187], v[74:75]
	;; [unrolled: 1-line block ×5, first 2 shown]
	v_mul_f64_e32 v[162:163], v[164:165], v[208:209]
	v_fma_f64 v[74:75], v[164:165], v[206:207], v[82:83]
	v_mul_f64_e32 v[164:165], v[150:151], v[212:213]
	v_fma_f64 v[80:81], v[150:151], v[210:211], v[84:85]
	v_fma_f64 v[76:77], v[152:153], v[214:215], v[86:87]
	v_mul_f64_e32 v[150:151], v[152:153], v[216:217]
	v_mul_f64_e32 v[152:153], v[142:143], v[220:221]
	v_fma_f64 v[86:87], v[142:143], v[218:219], v[88:89]
	v_mul_f64_e32 v[142:143], v[122:123], v[232:233]
	v_fma_f64 v[84:85], v[124:125], v[226:227], v[117:118]
	;; [unrolled: 2-line block ×3, first 2 shown]
	v_mul_f64_e32 v[146:147], v[148:149], v[188:189]
	v_mul_f64_e32 v[148:149], v[170:171], v[200:201]
	;; [unrolled: 1-line block ×3, first 2 shown]
	v_fma_f64 v[90:91], v[40:41], v[113:114], -v[115:116]
	v_fma_f64 v[40:41], v[44:45], v[109:110], -v[111:112]
	v_fma_f64 v[82:83], v[144:145], v[222:223], v[102:103]
	v_mul_f64_e32 v[102:103], v[144:145], v[224:225]
	v_add_f64_e32 v[98:99], v[56:57], v[58:59]
	v_add_f64_e32 v[113:114], v[126:127], v[18:19]
	v_add_f64_e64 v[115:116], v[32:33], -v[36:37]
	v_add_f64_e32 v[124:125], v[128:129], v[56:57]
	v_lshlrev_b32_e32 v171, 3, v178
	v_mul_u32_u24_e32 v170, 0xf0, v185
	v_lshlrev_b32_e32 v172, 3, v181
	v_fma_f64 v[94:95], v[42:43], v[190:191], -v[154:155]
	v_fma_f64 v[42:43], v[48:49], v[194:195], -v[160:161]
	v_add_f64_e32 v[96:97], v[62:63], v[68:69]
	v_add_f64_e32 v[100:101], v[60:61], v[64:65]
	;; [unrolled: 1-line block ×4, first 2 shown]
	v_fma_f64 v[44:45], v[50:51], v[206:207], -v[162:163]
	v_fma_f64 v[28:29], v[28:29], v[210:211], -v[164:165]
	v_and_b32_e32 v165, 0xffff, v176
	v_mul_u32_u24_e32 v164, 0xf0, v177
	v_fma_f64 v[30:31], v[30:31], v[214:215], -v[150:151]
	v_fma_f64 v[24:25], v[24:25], v[218:219], -v[152:153]
	v_add_f64_e32 v[150:151], v[140:141], v[76:77]
	v_fma_f64 v[48:49], v[22:23], v[230:231], -v[142:143]
	v_add_f64_e32 v[22:23], v[80:81], v[86:87]
	;; [unrolled: 2-line block ×3, first 2 shown]
	v_fma_f64 v[38:39], v[46:47], v[186:187], -v[146:147]
	v_fma_f64 v[46:47], v[52:53], v[198:199], -v[148:149]
	;; [unrolled: 1-line block ×3, first 2 shown]
	v_add_f64_e32 v[54:55], v[18:19], v[72:73]
	v_add_f64_e64 v[122:123], v[90:91], -v[40:41]
	v_add_f64_e32 v[148:149], v[138:139], v[80:81]
	v_fma_f64 v[26:27], v[26:27], v[222:223], -v[102:103]
	v_add_f64_e32 v[102:103], v[66:67], v[74:75]
	v_add_f64_e32 v[16:17], v[76:77], v[82:83]
	v_fma_f64 v[98:99], v[98:99], -0.5, v[128:129]
	v_add_f64_e32 v[117:118], v[134:135], v[62:63]
	v_add_f64_e32 v[142:143], v[136:137], v[60:61]
	;; [unrolled: 1-line block ×4, first 2 shown]
	v_fma_f64 v[96:97], v[96:97], -0.5, v[134:135]
	v_fma_f64 v[100:101], v[100:101], -0.5, v[136:137]
	v_add_f64_e32 v[144:145], v[144:145], v[78:79]
	v_fma_f64 v[109:110], v[109:110], -0.5, v[130:131]
	v_add_f64_e64 v[130:131], v[28:29], -v[24:25]
	v_add_f64_e32 v[150:151], v[150:151], v[82:83]
	v_fma_f64 v[22:23], v[22:23], -0.5, v[138:139]
	v_add_f64_e64 v[138:139], v[48:49], -v[50:51]
	v_fma_f64 v[111:112], v[111:112], -0.5, v[120:121]
	v_add_f64_e64 v[128:129], v[94:95], -v[38:39]
	v_add_f64_e64 v[134:135], v[46:47], -v[42:43]
	;; [unrolled: 1-line block ×3, first 2 shown]
	v_fma_f64 v[54:55], v[54:55], -0.5, v[126:127]
	v_add_f64_e64 v[126:127], v[92:93], -v[34:35]
	v_add_f64_e32 v[148:149], v[148:149], v[86:87]
	v_fma_f64 v[102:103], v[102:103], -0.5, v[132:133]
	v_add_f64_e64 v[132:133], v[30:31], -v[26:27]
	v_fma_f64 v[16:17], v[16:17], -0.5, v[140:141]
	v_add_f64_e32 v[140:141], v[113:114], v[72:73]
	v_add_f64_e32 v[152:153], v[117:118], v[68:69]
	;; [unrolled: 1-line block ×4, first 2 shown]
	v_mul_u32_u24_e32 v113, 0xf0, v165
	v_lshlrev_b32_e32 v114, 3, v179
	s_delay_alu instid0(VALU_DEP_1)
	v_add3_u32 v118, 0, v113, v114
	v_fma_f64 v[156:157], v[122:123], s[2:3], v[96:97]
	s_wait_alu 0xfffe
	v_fma_f64 v[122:123], v[122:123], s[6:7], v[96:97]
	v_fma_f64 v[96:97], v[138:139], s[2:3], v[111:112]
	;; [unrolled: 1-line block ×16, first 2 shown]
	v_lshlrev_b32_e32 v115, 3, v235
	v_lshlrev_b32_e32 v116, 3, v236
	;; [unrolled: 1-line block ×4, first 2 shown]
	v_mul_lo_u16 v109, v234, 30
	v_lshlrev_b32_e32 v110, 3, v240
	v_add3_u32 v117, 0, v166, v115
	v_add3_u32 v116, 0, v167, v116
	;; [unrolled: 1-line block ×4, first 2 shown]
	scratch_store_b64 off, v[96:97], off    ; 8-byte Folded Spill
	v_fma_f64 v[96:97], v[138:139], s[6:7], v[111:112]
	v_add3_u32 v112, 0, v119, v171
	v_lshlrev_b32_e32 v119, 3, v237
	v_add3_u32 v111, 0, v164, v172
	s_delay_alu instid0(VALU_DEP_2)
	v_add3_u32 v115, 0, v168, v119
	scratch_store_b64 off, v[96:97], off offset:8 ; 8-byte Folded Spill
	global_wb scope:SCOPE_SE
	s_wait_storecnt 0x0
	s_barrier_signal -1
	s_barrier_wait -1
	global_inv scope:SCOPE_SE
	ds_store_2addr_b64 v112, v[140:141], v[154:155] offset1:10
	ds_store_b64 v112, v[54:55] offset:160
	ds_store_2addr_b64 v118, v[124:125], v[158:159] offset1:10
	ds_store_b64 v118, v[126:127] offset:160
	ds_store_2addr_b64 v111, v[152:153], v[156:157] offset1:10
	ds_store_b64 v111, v[122:123] offset:160
	ds_store_2addr_b64 v117, v[142:143], v[160:161] offset1:10
	ds_store_b64 v117, v[100:101] offset:160
	ds_store_2addr_b64 v116, v[144:145], v[128:129] offset1:10
	ds_store_b64 v116, v[134:135] offset:160
	ds_store_2addr_b64 v115, v[146:147], v[162:163] offset1:10
	ds_store_b64 v115, v[102:103] offset:160
	ds_store_2addr_b64 v114, v[148:149], v[136:137] offset1:10
	ds_store_b64 v114, v[22:23] offset:160
	ds_store_2addr_b64 v113, v[150:151], v[130:131] offset1:10
	ds_store_b64 v113, v[16:17] offset:160
	s_and_saveexec_b32 s1, s0
	s_cbranch_execz .LBB0_23
; %bb.22:
	scratch_load_b64 v[54:55], off, off     ; 8-byte Folded Reload
	v_add_f64_e32 v[16:17], v[120:121], v[88:89]
	v_and_b32_e32 v22, 0xffff, v109
	s_delay_alu instid0(VALU_DEP_1) | instskip(NEXT) | instid1(VALU_DEP_1)
	v_lshlrev_b32_e32 v22, 3, v22
	v_add3_u32 v22, 0, v110, v22
	s_delay_alu instid0(VALU_DEP_4)
	v_add_f64_e32 v[16:17], v[16:17], v[84:85]
	s_wait_loadcnt 0x0
	ds_store_2addr_b64 v22, v[16:17], v[54:55] offset1:10
	scratch_load_b64 v[16:17], off, off offset:8 ; 8-byte Folded Reload
	s_wait_loadcnt 0x0
	ds_store_b64 v22, v[16:17] offset:160
.LBB0_23:
	s_wait_alu 0xfffe
	s_or_b32 exec_lo, exec_lo, s1
	v_add_f64_e32 v[16:17], v[32:33], v[36:37]
	v_add_f64_e32 v[54:55], v[90:91], v[40:41]
	;; [unrolled: 1-line block ×10, first 2 shown]
	v_add_f64_e64 v[18:19], v[18:19], -v[72:73]
	v_add_f64_e32 v[90:91], v[8:9], v[90:91]
	v_add_f64_e64 v[57:58], v[56:57], -v[58:59]
	v_add_f64_e32 v[72:73], v[2:3], v[92:93]
	v_add_f64_e32 v[92:93], v[10:11], v[94:95]
	v_add_f64_e64 v[62:63], v[62:63], -v[68:69]
	v_add_f64_e32 v[46:47], v[4:5], v[46:47]
	v_add_f64_e32 v[52:53], v[6:7], v[52:53]
	;; [unrolled: 1-line block ×4, first 2 shown]
	v_add_f64_e64 v[68:69], v[76:77], -v[82:83]
	v_add_nc_u32_e32 v152, 0x800, v175
	v_add_nc_u32_e32 v147, 0x1800, v175
	;; [unrolled: 1-line block ×4, first 2 shown]
	global_wb scope:SCOPE_SE
	s_wait_dscnt 0x0
	s_barrier_signal -1
	s_barrier_wait -1
	global_inv scope:SCOPE_SE
	v_add_nc_u32_e32 v98, 0x1000, v175
	v_add_nc_u32_e32 v99, 0x2800, v175
	;; [unrolled: 1-line block ×7, first 2 shown]
	v_fma_f64 v[16:17], v[16:17], -0.5, v[0:1]
	v_fma_f64 v[8:9], v[54:55], -0.5, v[8:9]
	v_add_f64_e64 v[54:55], v[60:61], -v[64:65]
	v_add_f64_e64 v[59:60], v[70:71], -v[78:79]
	;; [unrolled: 1-line block ×4, first 2 shown]
	v_fma_f64 v[74:75], v[125:126], -0.5, v[20:21]
	v_fma_f64 v[22:23], v[22:23], -0.5, v[2:3]
	;; [unrolled: 1-line block ×5, first 2 shown]
	v_add_f64_e64 v[66:67], v[80:81], -v[86:87]
	v_fma_f64 v[12:13], v[121:122], -0.5, v[12:13]
	v_fma_f64 v[14:15], v[123:124], -0.5, v[14:15]
	v_add_f64_e32 v[76:77], v[32:33], v[36:37]
	v_add_f64_e32 v[78:79], v[90:91], v[40:41]
	;; [unrolled: 1-line block ×4, first 2 shown]
	ds_load_2addr_b64 v[0:3], v175 offset1:90
	v_add_f64_e32 v[82:83], v[46:47], v[42:43]
	v_add_f64_e32 v[84:85], v[52:53], v[44:45]
	;; [unrolled: 1-line block ×4, first 2 shown]
	v_fma_f64 v[90:91], v[18:19], s[6:7], v[16:17]
	v_fma_f64 v[92:93], v[18:19], s[2:3], v[16:17]
	v_fma_f64 v[119:120], v[62:63], s[6:7], v[8:9]
	v_fma_f64 v[61:62], v[62:63], s[2:3], v[8:9]
	v_fma_f64 v[102:103], v[70:71], s[6:7], v[74:75]
	v_fma_f64 v[100:101], v[70:71], s[2:3], v[74:75]
	v_fma_f64 v[94:95], v[57:58], s[6:7], v[22:23]
	v_fma_f64 v[57:58], v[57:58], s[2:3], v[22:23]
	v_fma_f64 v[121:122], v[54:55], s[6:7], v[10:11]
	v_fma_f64 v[123:124], v[54:55], s[2:3], v[10:11]
	v_fma_f64 v[125:126], v[59:60], s[6:7], v[4:5]
	v_fma_f64 v[59:60], v[59:60], s[2:3], v[4:5]
	v_fma_f64 v[127:128], v[64:65], s[6:7], v[6:7]
	v_fma_f64 v[63:64], v[64:65], s[2:3], v[6:7]
	v_fma_f64 v[129:130], v[66:67], s[6:7], v[12:13]
	v_fma_f64 v[65:66], v[66:67], s[2:3], v[12:13]
	v_fma_f64 v[131:132], v[68:69], s[6:7], v[14:15]
	v_fma_f64 v[67:68], v[68:69], s[2:3], v[14:15]
	ds_load_b64 v[46:47], v175 offset:17280
	ds_load_2addr_b64 v[4:7], v152 offset0:104 offset1:194
	ds_load_2addr_b64 v[52:55], v147 offset0:132 offset1:222
	;; [unrolled: 1-line block ×11, first 2 shown]
	global_wb scope:SCOPE_SE
	s_wait_dscnt 0x0
	s_barrier_signal -1
	s_barrier_wait -1
	global_inv scope:SCOPE_SE
	ds_store_2addr_b64 v112, v[76:77], v[90:91] offset1:10
	ds_store_b64 v112, v[92:93] offset:160
	ds_store_2addr_b64 v118, v[72:73], v[94:95] offset1:10
	ds_store_b64 v118, v[57:58] offset:160
	ds_store_2addr_b64 v111, v[78:79], v[119:120] offset1:10
	ds_store_b64 v111, v[61:62] offset:160
	ds_store_2addr_b64 v117, v[80:81], v[121:122] offset1:10
	ds_store_b64 v117, v[123:124] offset:160
	ds_store_2addr_b64 v116, v[82:83], v[125:126] offset1:10
	ds_store_b64 v116, v[59:60] offset:160
	ds_store_2addr_b64 v115, v[84:85], v[127:128] offset1:10
	ds_store_b64 v115, v[63:64] offset:160
	ds_store_2addr_b64 v114, v[86:87], v[129:130] offset1:10
	ds_store_b64 v114, v[65:66] offset:160
	ds_store_2addr_b64 v113, v[88:89], v[131:132] offset1:10
	ds_store_b64 v113, v[67:68] offset:160
	s_and_saveexec_b32 s1, s0
	s_cbranch_execz .LBB0_25
; %bb.24:
	v_add_f64_e32 v[20:21], v[20:21], v[48:49]
	v_and_b32_e32 v48, 0xffff, v109
	s_delay_alu instid0(VALU_DEP_1) | instskip(NEXT) | instid1(VALU_DEP_1)
	v_lshlrev_b32_e32 v48, 3, v48
	v_add3_u32 v48, 0, v110, v48
	s_delay_alu instid0(VALU_DEP_4)
	v_add_f64_e32 v[20:21], v[20:21], v[50:51]
	ds_store_2addr_b64 v48, v[20:21], v[102:103] offset1:10
	ds_store_b64 v48, v[100:101] offset:160
.LBB0_25:
	s_wait_alu 0xfffe
	s_or_b32 exec_lo, exec_lo, s1
	v_mul_lo_u16 v20, 0x89, v108
	v_mul_lo_u16 v21, 0x89, v107
	v_mul_u32_u24_e32 v48, 0x8889, v106
	global_wb scope:SCOPE_SE
	s_wait_dscnt 0x0
	s_barrier_signal -1
	v_lshrrev_b16 v20, 12, v20
	v_lshrrev_b16 v21, 12, v21
	v_lshrrev_b32_e32 v158, 20, v48
	s_barrier_wait -1
	global_inv scope:SCOPE_SE
	v_mul_lo_u16 v49, v20, 30
	v_mul_lo_u16 v50, v21, 30
	;; [unrolled: 1-line block ×3, first 2 shown]
	s_mov_b32 s2, 0x134454ff
	s_mov_b32 s3, 0xbfee6f0e
	v_sub_nc_u16 v48, v174, v49
	v_sub_nc_u16 v49, v244, v50
	v_mul_u32_u24_e32 v50, 0x8889, v104
	s_mov_b32 s7, 0x3fee6f0e
	s_wait_alu 0xfffe
	s_mov_b32 s6, s2
	v_dual_mov_b32 v96, v147 :: v_dual_and_b32 v159, 0xff, v48
	v_lshrrev_b32_e32 v161, 20, v50
	v_and_b32_e32 v160, 0xff, v49
	v_sub_nc_u16 v48, v241, v51
	v_mul_u32_u24_e32 v49, 0x8889, v105
	v_lshlrev_b32_e32 v50, 6, v159
	v_mul_lo_u16 v65, v161, 30
	v_lshlrev_b32_e32 v51, 6, v160
	v_and_b32_e32 v162, 0xffff, v48
	v_lshrrev_b32_e32 v163, 20, v49
	s_clause 0x1
	global_load_b128 v[57:60], v50, s[4:5] offset:336
	global_load_b128 v[61:64], v51, s[4:5] offset:336
	v_sub_nc_u16 v48, v242, v65
	v_lshlrev_b32_e32 v49, 6, v162
	v_mul_lo_u16 v69, v163, 30
	s_clause 0x3
	global_load_b128 v[65:68], v50, s[4:5] offset:368
	global_load_b128 v[80:83], v51, s[4:5] offset:368
	;; [unrolled: 1-line block ×4, first 2 shown]
	v_and_b32_e32 v164, 0xffff, v48
	v_sub_nc_u16 v48, v243, v69
	s_clause 0x2
	global_load_b128 v[118:121], v51, s[4:5] offset:352
	global_load_b128 v[130:133], v49, s[4:5] offset:352
	;; [unrolled: 1-line block ×3, first 2 shown]
	s_mov_b32 s10, 0x4755a5e
	v_lshlrev_b32_e32 v51, 6, v164
	s_clause 0x2
	global_load_b128 v[138:141], v50, s[4:5] offset:320
	global_load_b128 v[142:145], v49, s[4:5] offset:336
	;; [unrolled: 1-line block ×3, first 2 shown]
	v_and_b32_e32 v165, 0xffff, v48
	s_mov_b32 s11, 0xbfe2cf23
	s_mov_b32 s13, 0x3fe2cf23
	s_wait_alu 0xfffe
	s_mov_b32 s12, s10
	s_mov_b32 s14, 0x372fe950
	v_lshlrev_b32_e32 v48, 6, v165
	s_clause 0x7
	global_load_b128 v[170:173], v49, s[4:5] offset:368
	global_load_b128 v[186:189], v51, s[4:5] offset:368
	;; [unrolled: 1-line block ×8, first 2 shown]
	ds_load_2addr_b64 v[214:217], v147 offset0:132 offset1:222
	ds_load_2addr_b64 v[218:221], v97 offset0:8 offset1:98
	;; [unrolled: 1-line block ×10, first 2 shown]
	ds_load_b64 v[250:251], v175 offset:17280
	s_mov_b32 s15, 0x3fd3c6ef
	s_wait_loadcnt_dscnt 0x130a
	v_mul_f64_e32 v[69:70], v[214:215], v[59:60]
	s_wait_loadcnt 0x12
	v_mul_f64_e32 v[71:72], v[216:217], v[63:64]
	v_mul_f64_e32 v[59:60], v[52:53], v[59:60]
	;; [unrolled: 1-line block ×3, first 2 shown]
	s_wait_loadcnt_dscnt 0x1109
	v_mul_f64_e32 v[78:79], v[218:219], v[67:68]
	s_wait_loadcnt 0x10
	v_mul_f64_e32 v[84:85], v[220:221], v[82:83]
	s_wait_loadcnt_dscnt 0xf08
	v_mul_f64_e32 v[88:89], v[222:223], v[76:77]
	s_wait_loadcnt 0xe
	v_mul_f64_e32 v[90:91], v[224:225], v[106:107]
	v_mul_f64_e32 v[67:68], v[42:43], v[67:68]
	s_wait_loadcnt_dscnt 0xd07
	v_mul_f64_e32 v[92:93], v[226:227], v[120:121]
	s_wait_loadcnt 0xc
	v_mul_f64_e32 v[110:111], v[228:229], v[132:133]
	s_wait_loadcnt_dscnt 0xb06
	v_mul_f64_e32 v[112:113], v[232:233], v[136:137]
	v_mul_f64_e32 v[148:149], v[44:45], v[82:83]
	;; [unrolled: 1-line block ×3, first 2 shown]
	s_wait_loadcnt_dscnt 0xa05
	v_mul_f64_e32 v[114:115], v[50:51], v[140:141]
	s_wait_loadcnt_dscnt 0x904
	v_mul_f64_e32 v[116:117], v[234:235], v[144:145]
	s_wait_loadcnt 0x8
	v_mul_f64_e32 v[122:123], v[236:237], v[168:169]
	v_mul_f64_e32 v[140:141], v[6:7], v[140:141]
	s_wait_loadcnt_dscnt 0x703
	v_mul_f64_e32 v[124:125], v[238:239], v[172:173]
	s_wait_loadcnt 0x6
	v_mul_f64_e32 v[146:147], v[240:241], v[188:189]
	s_wait_loadcnt 0x5
	v_mul_f64_e32 v[252:253], v[230:231], v[192:193]
	s_wait_loadcnt_dscnt 0x401
	v_mul_f64_e32 v[254:255], v[246:247], v[196:197]
	s_wait_loadcnt 0x3
	v_mul_f64_e32 v[176:177], v[242:243], v[200:201]
	s_wait_loadcnt 0x2
	;; [unrolled: 2-line block ×3, first 2 shown]
	v_mul_f64_e32 v[180:181], v[244:245], v[208:209]
	s_wait_loadcnt_dscnt 0x0
	v_mul_f64_e32 v[182:183], v[250:251], v[212:213]
	v_fma_f64 v[86:87], v[52:53], v[57:58], v[69:70]
	v_fma_f64 v[70:71], v[54:55], v[61:62], v[71:72]
	v_mul_f64_e32 v[54:55], v[18:19], v[136:137]
	v_mul_f64_e32 v[52:53], v[40:41], v[106:107]
	v_fma_f64 v[108:109], v[42:43], v[65:66], v[78:79]
	v_fma_f64 v[84:85], v[44:45], v[80:81], v[84:85]
	;; [unrolled: 1-line block ×3, first 2 shown]
	v_mul_f64_e32 v[42:43], v[34:35], v[120:121]
	v_fma_f64 v[76:77], v[40:41], v[104:105], v[90:91]
	v_fma_f64 v[88:89], v[34:35], v[118:119], v[92:93]
	v_mul_f64_e32 v[38:39], v[30:31], v[144:145]
	v_fma_f64 v[126:127], v[18:19], v[134:135], v[112:113]
	v_mul_f64_e32 v[18:19], v[12:13], v[200:201]
	v_fma_f64 v[78:79], v[36:37], v[130:131], v[110:111]
	v_fma_f64 v[128:129], v[6:7], v[138:139], v[114:115]
	v_mul_f64_e32 v[34:35], v[26:27], v[172:173]
	v_fma_f64 v[90:91], v[30:31], v[142:143], v[116:117]
	v_mul_f64_e32 v[30:31], v[22:23], v[196:197]
	v_mul_f64_e32 v[44:45], v[36:37], v[132:133]
	;; [unrolled: 1-line block ×3, first 2 shown]
	v_fma_f64 v[112:113], v[26:27], v[170:171], v[124:125]
	v_fma_f64 v[82:83], v[32:33], v[166:167], v[122:123]
	v_mul_f64_e32 v[26:27], v[14:15], v[208:209]
	v_fma_f64 v[110:111], v[22:23], v[194:195], v[254:255]
	v_mul_f64_e32 v[40:41], v[32:33], v[168:169]
	;; [unrolled: 2-line block ×3, first 2 shown]
	v_fma_f64 v[120:121], v[12:13], v[198:199], v[176:177]
	v_fma_f64 v[92:93], v[16:17], v[190:191], v[252:253]
	v_mul_f64_e32 v[12:13], v[46:47], v[212:213]
	v_fma_f64 v[114:115], v[24:25], v[202:203], v[178:179]
	v_mul_f64_e32 v[16:17], v[24:25], v[204:205]
	v_fma_f64 v[122:123], v[14:15], v[206:207], v[180:181]
	v_fma_f64 v[124:125], v[46:47], v[210:211], v[182:183]
	v_fma_f64 v[132:133], v[50:51], v[138:139], -v[140:141]
	v_fma_f64 v[72:73], v[214:215], v[57:58], -v[59:60]
	;; [unrolled: 1-line block ×7, first 2 shown]
	v_add_f64_e32 v[24:25], v[94:95], v[84:85]
	v_fma_f64 v[66:67], v[226:227], v[118:119], -v[42:43]
	v_fma_f64 v[118:119], v[224:225], v[104:105], -v[52:53]
	v_add_f64_e32 v[46:47], v[2:3], v[94:95]
	v_fma_f64 v[80:81], v[234:235], v[142:143], -v[38:39]
	v_add_f64_e32 v[14:15], v[86:87], v[126:127]
	;; [unrolled: 2-line block ×3, first 2 shown]
	v_add_f64_e32 v[22:23], v[128:129], v[108:109]
	v_fma_f64 v[62:63], v[238:239], v[170:171], -v[34:35]
	v_add_f64_e32 v[32:33], v[0:1], v[128:129]
	v_fma_f64 v[134:135], v[246:247], v[194:195], -v[30:31]
	v_add_f64_e32 v[30:31], v[90:91], v[78:79]
	v_fma_f64 v[68:69], v[228:229], v[130:131], -v[44:45]
	v_fma_f64 v[130:131], v[240:241], v[186:187], -v[6:7]
	v_add_f64_e32 v[6:7], v[76:77], v[112:113]
	v_fma_f64 v[142:143], v[244:245], v[206:207], -v[26:27]
	v_add_f64_e32 v[26:27], v[82:83], v[110:111]
	;; [unrolled: 2-line block ×4, first 2 shown]
	v_add_f64_e32 v[54:55], v[10:11], v[120:121]
	v_fma_f64 v[140:141], v[250:251], v[210:211], -v[12:13]
	v_add_f64_e32 v[12:13], v[92:93], v[114:115]
	v_fma_f64 v[144:145], v[248:249], v[202:203], -v[16:17]
	v_add_f64_e32 v[56:57], v[4:5], v[122:123]
	v_add_f64_e32 v[16:17], v[122:123], v[124:125]
	v_add_f64_e64 v[38:39], v[128:129], -v[86:87]
	v_add_f64_e64 v[40:41], v[108:109], -v[126:127]
	;; [unrolled: 1-line block ×13, first 2 shown]
	v_add_f64_e32 v[46:47], v[46:47], v[70:71]
	v_add_f64_e64 v[176:177], v[112:113], -v[78:79]
	v_fma_f64 v[14:15], v[14:15], -0.5, v[0:1]
	v_add_f64_e64 v[182:183], v[120:121], -v[82:83]
	v_fma_f64 v[18:19], v[18:19], -0.5, v[2:3]
	v_fma_f64 v[0:1], v[22:23], -0.5, v[0:1]
	;; [unrolled: 1-line block ×3, first 2 shown]
	v_add_f64_e64 v[24:25], v[118:119], -v[62:63]
	v_add_f64_e32 v[32:33], v[32:33], v[86:87]
	v_fma_f64 v[30:31], v[30:31], -0.5, v[8:9]
	v_add_f64_e64 v[150:151], v[80:81], -v[68:69]
	v_add_f64_e64 v[22:23], v[94:95], -v[70:71]
	v_fma_f64 v[6:7], v[6:7], -0.5, v[8:9]
	v_add_f64_e64 v[8:9], v[136:137], -v[130:131]
	v_fma_f64 v[26:27], v[26:27], -0.5, v[10:11]
	v_add_f64_e64 v[166:167], v[138:139], -v[134:135]
	v_add_f64_e64 v[184:185], v[106:107], -v[110:111]
	v_add_f64_e32 v[52:53], v[52:53], v[90:91]
	v_fma_f64 v[10:11], v[28:29], -0.5, v[10:11]
	v_add_f64_e32 v[54:55], v[54:55], v[82:83]
	v_add_f64_e64 v[28:29], v[142:143], -v[140:141]
	v_fma_f64 v[12:13], v[12:13], -0.5, v[4:5]
	v_add_f64_e64 v[168:169], v[146:147], -v[144:145]
	v_add_f64_e64 v[186:187], v[82:83], -v[120:121]
	v_fma_f64 v[4:5], v[16:17], -0.5, v[4:5]
	v_add_f64_e64 v[16:17], v[70:71], -v[94:95]
	v_add_f64_e64 v[188:189], v[110:111], -v[106:107]
	;; [unrolled: 1-line block ×4, first 2 shown]
	v_add_f64_e32 v[56:57], v[56:57], v[92:93]
	v_add_f64_e64 v[194:195], v[92:93], -v[122:123]
	v_add_f64_e64 v[196:197], v[114:115], -v[124:125]
	v_add_f64_e32 v[38:39], v[38:39], v[40:41]
	v_add_f64_e32 v[40:41], v[42:43], v[44:45]
	;; [unrolled: 1-line block ×5, first 2 shown]
	v_fma_f64 v[198:199], v[34:35], s[2:3], v[14:15]
	v_fma_f64 v[14:15], v[34:35], s[6:7], v[14:15]
	;; [unrolled: 1-line block ×14, first 2 shown]
	v_add_f64_e32 v[32:33], v[32:33], v[126:127]
	v_add_f64_e32 v[22:23], v[22:23], v[148:149]
	v_fma_f64 v[212:213], v[166:167], s[6:7], v[10:11]
	v_fma_f64 v[10:11], v[166:167], s[2:3], v[10:11]
	v_add_f64_e32 v[148:149], v[182:183], v[184:185]
	v_fma_f64 v[214:215], v[28:29], s[2:3], v[12:13]
	v_fma_f64 v[12:13], v[28:29], s[6:7], v[12:13]
	;; [unrolled: 3-line block ×3, first 2 shown]
	v_add_f64_e32 v[16:17], v[16:17], v[170:171]
	v_add_f64_e32 v[54:55], v[54:55], v[110:111]
	;; [unrolled: 1-line block ×6, first 2 shown]
	v_fma_f64 v[180:181], v[36:37], s[10:11], v[198:199]
	s_wait_alu 0xfffe
	v_fma_f64 v[14:15], v[36:37], s[12:13], v[14:15]
	v_fma_f64 v[36:37], v[34:35], s[10:11], v[200:201]
	;; [unrolled: 1-line block ×13, first 2 shown]
	ds_load_2addr_b64 v[50:53], v175 offset1:90
	v_fma_f64 v[166:167], v[8:9], s[10:11], v[212:213]
	v_fma_f64 v[8:9], v[8:9], s[12:13], v[10:11]
	;; [unrolled: 1-line block ×6, first 2 shown]
	v_add_f64_e32 v[28:29], v[32:33], v[108:109]
	v_add_f64_e32 v[32:33], v[46:47], v[84:85]
	;; [unrolled: 1-line block ×5, first 2 shown]
	ds_load_2addr_b64 v[54:57], v155 offset0:52 offset1:142
	global_wb scope:SCOPE_SE
	s_wait_dscnt 0x0
	s_barrier_signal -1
	s_barrier_wait -1
	global_inv scope:SCOPE_SE
	v_fma_f64 v[180:181], v[38:39], s[14:15], v[180:181]
	v_fma_f64 v[14:15], v[38:39], s[14:15], v[14:15]
	;; [unrolled: 1-line block ×14, first 2 shown]
	v_lshlrev_b32_e32 v45, 3, v159
	v_fma_f64 v[40:41], v[170:171], s[14:15], v[166:167]
	v_fma_f64 v[8:9], v[170:171], s[14:15], v[8:9]
	v_lshlrev_b32_e32 v148, 3, v160
	v_fma_f64 v[10:11], v[172:173], s[14:15], v[10:11]
	v_fma_f64 v[104:105], v[172:173], s[14:15], v[12:13]
	v_and_b32_e32 v12, 0xffff, v20
	v_fma_f64 v[42:43], v[176:177], s[14:15], v[184:185]
	v_fma_f64 v[4:5], v[176:177], s[14:15], v[4:5]
	v_and_b32_e32 v13, 0xffff, v21
	v_mul_u32_u24_e32 v20, 0x4b0, v158
	v_mul_u32_u24_e32 v12, 0x4b0, v12
	v_mul_u32_u24_e32 v21, 0x4b0, v161
	v_mul_u32_u24_e32 v44, 0x4b0, v163
	v_mul_u32_u24_e32 v13, 0x4b0, v13
	v_lshlrev_b32_e32 v149, 3, v162
	v_lshlrev_b32_e32 v150, 3, v164
	;; [unrolled: 1-line block ×3, first 2 shown]
	v_add3_u32 v162, 0, v12, v45
	v_add_nc_u32_e32 v166, 0x2c00, v175
	v_add3_u32 v161, 0, v13, v148
	v_add3_u32 v160, 0, v20, v149
	v_add3_u32 v159, 0, v21, v150
	v_add3_u32 v158, 0, v44, v151
	ds_store_2addr_b64 v162, v[28:29], v[180:181] offset1:30
	ds_store_2addr_b64 v162, v[36:37], v[0:1] offset0:60 offset1:90
	ds_store_b64 v162, v[14:15] offset:960
	ds_store_2addr_b64 v161, v[32:33], v[34:35] offset1:30
	ds_store_2addr_b64 v161, v[22:23], v[2:3] offset0:60 offset1:90
	ds_store_b64 v161, v[18:19] offset:960
	ds_store_2addr_b64 v160, v[46:47], v[16:17] offset1:30
	ds_store_2addr_b64 v160, v[38:39], v[6:7] offset0:60 offset1:90
	ds_store_b64 v160, v[30:31] offset:960
	ds_store_2addr_b64 v159, v[168:169], v[24:25] offset1:30
	ds_store_2addr_b64 v159, v[40:41], v[8:9] offset0:60 offset1:90
	ds_store_b64 v159, v[26:27] offset:960
	ds_store_2addr_b64 v158, v[178:179], v[10:11] offset1:30
	ds_store_2addr_b64 v158, v[42:43], v[4:5] offset0:60 offset1:90
	ds_store_b64 v158, v[104:105] offset:960
	global_wb scope:SCOPE_SE
	s_wait_dscnt 0x0
	s_barrier_signal -1
	s_barrier_wait -1
	global_inv scope:SCOPE_SE
	ds_load_2addr_b64 v[12:15], v175 offset1:90
	ds_load_2addr_b64 v[32:35], v157 offset0:110 offset1:200
	ds_load_2addr_b64 v[40:43], v166 offset0:92 offset1:182
	;; [unrolled: 1-line block ×11, first 2 shown]
	v_lshl_add_u32 v148, v174, 3, 0
	s_and_saveexec_b32 s1, s0
	s_cbranch_execz .LBB0_27
; %bb.26:
	ds_load_b64 v[96:97], v175 offset:11760
	s_wait_dscnt 0x0
	scratch_store_b64 off, v[96:97], off    ; 8-byte Folded Spill
	ds_load_b64 v[104:105], v148 offset:5760
	ds_load_b64 v[96:97], v175 offset:17760
	s_wait_dscnt 0x0
	scratch_store_b64 off, v[96:97], off offset:8 ; 8-byte Folded Spill
.LBB0_27:
	s_wait_alu 0xfffe
	s_or_b32 exec_lo, exec_lo, s1
	v_add_f64_e32 v[149:150], v[72:73], v[64:65]
	v_add_f64_e32 v[151:152], v[132:133], v[58:59]
	;; [unrolled: 1-line block ×11, first 2 shown]
	v_add_f64_e64 v[108:109], v[128:129], -v[108:109]
	v_add_f64_e64 v[84:85], v[94:95], -v[84:85]
	v_add_f64_e32 v[94:95], v[54:55], v[118:119]
	v_add_f64_e32 v[186:187], v[56:57], v[136:137]
	;; [unrolled: 1-line block ×3, first 2 shown]
	v_add_f64_e64 v[86:87], v[86:87], -v[126:127]
	v_add_f64_e32 v[184:185], v[52:53], v[116:117]
	v_add_f64_e64 v[70:71], v[70:71], -v[88:89]
	v_add_f64_e64 v[76:77], v[76:77], -v[112:113]
	;; [unrolled: 1-line block ×17, first 2 shown]
	global_wb scope:SCOPE_SE
	s_wait_storecnt_dscnt 0x0
	s_barrier_signal -1
	s_barrier_wait -1
	v_fma_f64 v[149:150], v[149:150], -0.5, v[50:51]
	v_fma_f64 v[50:51], v[151:152], -0.5, v[50:51]
	;; [unrolled: 1-line block ×10, first 2 shown]
	v_add_f64_e64 v[163:164], v[136:137], -v[138:139]
	v_add_f64_e64 v[136:137], v[138:139], -v[136:137]
	;; [unrolled: 1-line block ×4, first 2 shown]
	v_add_f64_e32 v[72:73], v[180:181], v[72:73]
	v_add_f64_e32 v[80:81], v[94:95], v[80:81]
	;; [unrolled: 1-line block ×5, first 2 shown]
	v_add_f64_e64 v[153:154], v[62:63], -v[68:69]
	v_add_f64_e64 v[155:156], v[68:69], -v[62:63]
	;; [unrolled: 1-line block ×6, first 2 shown]
	global_inv scope:SCOPE_SE
	v_add_f64_e32 v[126:127], v[126:127], v[128:129]
	v_add_f64_e32 v[128:129], v[132:133], v[182:183]
	v_add_f64_e32 v[88:89], v[88:89], v[120:121]
	v_add_f64_e32 v[116:117], v[116:117], v[122:123]
	v_fma_f64 v[146:147], v[108:109], s[6:7], v[149:150]
	v_fma_f64 v[180:181], v[86:87], s[2:3], v[50:51]
	;; [unrolled: 1-line block ×20, first 2 shown]
	v_add_f64_e32 v[64:65], v[72:73], v[64:65]
	v_add_f64_e32 v[68:69], v[80:81], v[68:69]
	;; [unrolled: 1-line block ×11, first 2 shown]
	v_fma_f64 v[80:81], v[86:87], s[12:13], v[146:147]
	v_fma_f64 v[94:95], v[108:109], s[12:13], v[180:181]
	;; [unrolled: 1-line block ×20, first 2 shown]
	v_add_f64_e32 v[58:59], v[64:65], v[58:59]
	v_add_f64_e32 v[62:63], v[68:69], v[62:63]
	v_add_f64_e32 v[60:61], v[66:67], v[60:61]
	v_add_f64_e32 v[64:65], v[72:73], v[130:131]
	v_add_f64_e32 v[66:67], v[74:75], v[140:141]
	v_add_nc_u32_e32 v112, 0x800, v175
	v_add_nc_u32_e32 v113, 0x2000, v175
	;; [unrolled: 1-line block ×4, first 2 shown]
	v_fma_f64 v[68:69], v[126:127], s[14:15], v[80:81]
	v_fma_f64 v[74:75], v[128:129], s[14:15], v[94:95]
	;; [unrolled: 1-line block ×20, first 2 shown]
	v_add_nc_u32_e32 v92, 0x1400, v175
	v_add_nc_u32_e32 v93, 0x400, v175
	;; [unrolled: 1-line block ×6, first 2 shown]
	ds_store_2addr_b64 v162, v[58:59], v[68:69] offset1:30
	ds_store_2addr_b64 v162, v[74:75], v[50:51] offset0:60 offset1:90
	ds_store_b64 v162, v[72:73] offset:960
	ds_store_2addr_b64 v161, v[60:61], v[80:81] offset1:30
	ds_store_2addr_b64 v161, v[86:87], v[52:53] offset0:60 offset1:90
	ds_store_b64 v161, v[70:71] offset:960
	;; [unrolled: 3-line block ×5, first 2 shown]
	global_wb scope:SCOPE_SE
	s_wait_dscnt 0x0
	s_barrier_signal -1
	s_barrier_wait -1
	global_inv scope:SCOPE_SE
	ds_load_2addr_b64 v[60:63], v175 offset1:90
	ds_load_2addr_b64 v[80:83], v92 offset0:110 offset1:200
	ds_load_2addr_b64 v[84:87], v166 offset0:92 offset1:182
	;; [unrolled: 1-line block ×11, first 2 shown]
	s_and_saveexec_b32 s1, s0
	s_cbranch_execz .LBB0_29
; %bb.28:
	ds_load_b64 v[102:103], v175 offset:11760
	ds_load_b64 v[106:107], v148 offset:5760
	;; [unrolled: 1-line block ×3, first 2 shown]
.LBB0_29:
	s_wait_alu 0xfffe
	s_or_b32 exec_lo, exec_lo, s1
	v_dual_mov_b32 v109, 0 :: v_dual_lshlrev_b32 v108, 1, v174
	v_subrev_nc_u32_e32 v110, 60, v174
	v_cmp_gt_u32_e64 s1, 60, v174
	v_add_nc_u32_e32 v226, 0x5a, v174
	s_delay_alu instid0(VALU_DEP_4)
	v_dual_mov_b32 v113, v109 :: v_dual_add_nc_u32 v224, 0x10e, v174
	v_add_nc_u32_e32 v225, 0x168, v174
	v_add_nc_u32_e32 v115, 0x1c2, v174
	s_wait_alu 0xf1ff
	v_cndmask_b32_e64 v173, v110, v226, s1
	v_lshlrev_b64_e32 v[110:111], 4, v[108:109]
	v_add_nc_u32_e32 v108, 60, v108
	v_lshrrev_b16 v114, 1, v224
	s_mov_b32 s2, 0xe8584caa
	v_lshlrev_b32_e32 v112, 1, v173
	s_mov_b32 s3, 0xbfebb67a
	v_add_co_u32 v110, s1, s4, v110
	s_wait_alu 0xf1ff
	v_add_co_ci_u32_e64 v111, s1, s5, v111, s1
	v_lshlrev_b64_e32 v[112:113], 4, v[112:113]
	v_lshlrev_b64_e32 v[108:109], 4, v[108:109]
	s_clause 0x1
	global_load_b128 v[118:121], v[110:111], off offset:2256
	global_load_b128 v[122:125], v[110:111], off offset:2240
	s_mov_b32 s7, 0x3febb67a
	s_wait_alu 0xfffe
	s_mov_b32 s6, s2
	v_add_co_u32 v110, s1, s4, v112
	s_wait_alu 0xf1ff
	v_add_co_ci_u32_e64 v111, s1, s5, v113, s1
	v_lshrrev_b16 v112, 1, v225
	v_add_co_u32 v108, s1, s4, v108
	s_wait_alu 0xf1ff
	v_add_co_ci_u32_e64 v109, s1, s5, v109, s1
	s_clause 0x1
	global_load_b128 v[126:129], v[110:111], off offset:2256
	global_load_b128 v[130:133], v[110:111], off offset:2240
	v_and_b32_e32 v110, 0xffff, v114
	v_and_b32_e32 v111, 0xffff, v112
	v_lshrrev_b16 v112, 1, v115
	s_clause 0x1
	global_load_b128 v[134:137], v[108:109], off offset:2256
	global_load_b128 v[138:141], v[108:109], off offset:2240
	v_add_nc_u32_e32 v113, 0x21c, v174
	v_mul_u32_u24_e32 v108, 0xda75, v110
	v_mul_u32_u24_e32 v109, 0xda75, v111
	v_add_nc_u32_e32 v114, 0x276, v174
	v_and_b32_e32 v111, 0xffff, v112
	v_lshrrev_b16 v110, 1, v113
	v_lshrrev_b32_e32 v182, 22, v108
	v_lshrrev_b32_e32 v108, 22, v109
	v_lshrrev_b16 v112, 1, v114
	v_cmp_lt_u32_e64 s1, 59, v174
	v_and_b32_e32 v109, 0xffff, v110
	v_mul_u32_u24_e32 v110, 0xda75, v111
	v_mul_lo_u16 v108, 0x96, v108
	v_and_b32_e32 v111, 0xffff, v112
	v_mul_lo_u16 v112, 0x96, v182
	v_mul_u32_u24_e32 v109, 0xda75, v109
	v_lshrrev_b32_e32 v110, 22, v110
	v_sub_nc_u16 v108, v225, v108
	v_mul_u32_u24_e32 v111, 0xda75, v111
	v_sub_nc_u16 v112, v224, v112
	v_lshrrev_b32_e32 v217, 22, v109
	v_mul_lo_u16 v109, 0x96, v110
	v_and_b32_e32 v219, 0xffff, v108
	v_lshrrev_b32_e32 v110, 22, v111
	v_and_b32_e32 v218, 0xffff, v112
	v_mul_lo_u16 v108, 0x96, v217
	v_sub_nc_u16 v109, v115, v109
	v_lshlrev_b32_e32 v112, 5, v219
	v_mul_lo_u16 v110, 0x96, v110
	v_lshlrev_b32_e32 v111, 5, v218
	s_clause 0x3
	global_load_b128 v[142:145], v111, s[4:5] offset:2256
	global_load_b128 v[149:152], v111, s[4:5] offset:2240
	;; [unrolled: 1-line block ×4, first 2 shown]
	v_sub_nc_u16 v108, v113, v108
	v_and_b32_e32 v220, 0xffff, v109
	v_sub_nc_u16 v109, v114, v110
	s_delay_alu instid0(VALU_DEP_3) | instskip(NEXT) | instid1(VALU_DEP_3)
	v_and_b32_e32 v221, 0xffff, v108
	v_lshlrev_b32_e32 v108, 5, v220
	s_delay_alu instid0(VALU_DEP_3) | instskip(SKIP_1) | instid1(VALU_DEP_4)
	v_and_b32_e32 v222, 0xffff, v109
	v_lshl_add_u32 v98, v220, 3, 0
	v_lshlrev_b32_e32 v109, 5, v221
	global_load_b128 v[161:164], v108, s[4:5] offset:2240
	v_lshlrev_b32_e32 v110, 5, v222
	s_clause 0x4
	global_load_b128 v[165:168], v108, s[4:5] offset:2256
	global_load_b128 v[169:172], v109, s[4:5] offset:2240
	;; [unrolled: 1-line block ×5, first 2 shown]
	v_add_nc_u32_e32 v109, 0x2d0, v174
	v_lshl_add_u32 v99, v222, 3, 0
	s_delay_alu instid0(VALU_DEP_2) | instskip(NEXT) | instid1(VALU_DEP_1)
	v_lshrrev_b16 v108, 1, v109
	v_and_b32_e32 v108, 0xffff, v108
	s_delay_alu instid0(VALU_DEP_1) | instskip(NEXT) | instid1(VALU_DEP_1)
	v_mul_u32_u24_e32 v108, 0xda75, v108
	v_lshrrev_b32_e32 v108, 22, v108
	s_delay_alu instid0(VALU_DEP_1) | instskip(NEXT) | instid1(VALU_DEP_1)
	v_mul_lo_u16 v108, 0x96, v108
	v_sub_nc_u16 v108, v109, v108
	s_delay_alu instid0(VALU_DEP_1) | instskip(NEXT) | instid1(VALU_DEP_1)
	v_and_b32_e32 v223, 0xffff, v108
	v_lshlrev_b32_e32 v108, 5, v223
	s_clause 0x1
	global_load_b128 v[195:198], v108, s[4:5] offset:2240
	global_load_b128 v[199:202], v108, s[4:5] offset:2256
	scratch_load_b64 v[96:97], off, off th:TH_LOAD_LU ; 8-byte Folded Reload
	s_wait_loadcnt_dscnt 0x1209
	v_mul_f64_e32 v[110:111], v[84:85], v[120:121]
	s_wait_loadcnt 0x11
	v_mul_f64_e32 v[108:109], v[80:81], v[124:125]
	v_mul_f64_e32 v[124:125], v[32:33], v[124:125]
	;; [unrolled: 1-line block ×3, first 2 shown]
	s_wait_loadcnt 0x10
	v_mul_f64_e32 v[116:117], v[86:87], v[128:129]
	s_wait_loadcnt 0xf
	v_mul_f64_e32 v[114:115], v[82:83], v[132:133]
	v_mul_f64_e32 v[132:133], v[34:35], v[132:133]
	;; [unrolled: 1-line block ×3, first 2 shown]
	s_wait_loadcnt_dscnt 0xe06
	v_mul_f64_e32 v[146:147], v[92:93], v[136:137]
	s_wait_loadcnt 0xd
	v_mul_f64_e32 v[112:113], v[88:89], v[140:141]
	v_mul_f64_e32 v[140:141], v[36:37], v[140:141]
	;; [unrolled: 1-line block ×3, first 2 shown]
	v_fma_f64 v[110:111], v[40:41], v[118:119], v[110:111]
	v_fma_f64 v[108:109], v[32:33], v[122:123], v[108:109]
	s_wait_loadcnt 0xc
	v_mul_f64_e32 v[178:179], v[94:95], v[144:145]
	s_wait_loadcnt_dscnt 0xa03
	v_mul_f64_e32 v[203:204], v[72:73], v[155:156]
	s_wait_loadcnt 0x9
	v_mul_f64_e32 v[180:181], v[76:77], v[159:160]
	v_mul_f64_e32 v[176:177], v[90:91], v[151:152]
	;; [unrolled: 1-line block ×3, first 2 shown]
	v_fma_f64 v[32:33], v[36:37], v[138:139], v[112:113]
	v_fma_f64 v[112:113], v[34:35], v[130:131], v[114:115]
	;; [unrolled: 1-line block ×3, first 2 shown]
	v_mul_f64_e32 v[144:145], v[46:47], v[144:145]
	v_mul_f64_e32 v[155:156], v[28:29], v[155:156]
	v_fma_f64 v[40:41], v[44:45], v[134:135], v[146:147]
	v_mul_f64_e32 v[159:160], v[24:25], v[159:160]
	v_fma_f64 v[116:117], v[80:81], v[122:123], -v[124:125]
	s_wait_loadcnt 0x7
	v_mul_f64_e32 v[207:208], v[74:75], v[167:168]
	s_wait_loadcnt_dscnt 0x601
	v_mul_f64_e32 v[209:210], v[68:69], v[171:172]
	v_mul_f64_e32 v[171:172], v[16:17], v[171:172]
	;; [unrolled: 1-line block ×3, first 2 shown]
	s_wait_loadcnt_dscnt 0x300
	v_mul_f64_e32 v[215:216], v[66:67], v[193:194]
	v_mul_f64_e32 v[146:147], v[22:23], v[193:194]
	;; [unrolled: 1-line block ×8, first 2 shown]
	v_fma_f64 v[80:81], v[88:89], v[138:139], -v[140:141]
	v_fma_f64 v[42:43], v[28:29], v[153:154], v[203:204]
	v_fma_f64 v[36:37], v[24:25], v[157:158], v[180:181]
	;; [unrolled: 1-line block ×4, first 2 shown]
	v_add_f64_e32 v[138:139], v[14:15], v[112:113]
	v_fma_f64 v[72:73], v[72:73], v[153:154], -v[155:156]
	v_fma_f64 v[76:77], v[76:77], v[157:158], -v[159:160]
	s_wait_alu 0xf1ff
	v_cndmask_b32_e64 v157, 0, 0xe10, s1
	v_fma_f64 v[44:45], v[30:31], v[165:166], v[207:208]
	v_fma_f64 v[28:29], v[16:17], v[169:170], v[209:210]
	v_fma_f64 v[16:17], v[84:85], v[118:119], -v[120:121]
	v_fma_f64 v[84:85], v[82:83], v[130:131], -v[132:133]
	;; [unrolled: 1-line block ×4, first 2 shown]
	v_fma_f64 v[30:31], v[22:23], v[191:192], v[215:216]
	v_fma_f64 v[22:23], v[94:95], v[142:143], -v[144:145]
	v_fma_f64 v[26:27], v[26:27], v[161:162], v[205:206]
	v_fma_f64 v[46:47], v[20:21], v[183:184], v[211:212]
	v_fma_f64 v[24:25], v[18:19], v[187:188], v[213:214]
	v_fma_f64 v[20:21], v[86:87], v[126:127], -v[128:129]
	v_add_f64_e32 v[94:95], v[108:109], v[110:111]
	v_add_f64_e32 v[118:119], v[112:113], v[114:115]
	v_fma_f64 v[18:19], v[92:93], v[134:135], -v[136:137]
	v_add_f64_e32 v[120:121], v[32:33], v[40:41]
	v_fma_f64 v[88:89], v[78:79], v[161:162], -v[163:164]
	v_fma_f64 v[74:75], v[74:75], v[165:166], -v[167:168]
	;; [unrolled: 1-line block ×5, first 2 shown]
	s_wait_loadcnt 0x2
	v_mul_f64_e32 v[70:71], v[102:103], v[197:198]
	s_wait_loadcnt 0x1
	v_mul_f64_e32 v[128:129], v[100:101], v[201:202]
	v_add_f64_e32 v[130:131], v[12:13], v[108:109]
	v_add_f64_e32 v[134:135], v[4:5], v[32:33]
	v_lshlrev_b32_e32 v158, 3, v173
	v_add_f64_e32 v[68:69], v[36:37], v[42:43]
	v_add_f64_e32 v[142:143], v[8:9], v[36:37]
	;; [unrolled: 1-line block ×5, first 2 shown]
	v_add_f64_e64 v[132:133], v[116:117], -v[16:17]
	v_add_f64_e32 v[124:125], v[26:27], v[44:45]
	v_add_f64_e32 v[64:65], v[28:29], v[46:47]
	;; [unrolled: 1-line block ×4, first 2 shown]
	v_fma_f64 v[12:13], v[94:95], -0.5, v[12:13]
	v_add_f64_e64 v[94:95], v[84:85], -v[20:21]
	v_fma_f64 v[14:15], v[118:119], -0.5, v[14:15]
	v_add_f64_e64 v[136:137], v[80:81], -v[18:19]
	v_add_f64_e32 v[149:150], v[2:3], v[24:25]
	v_fma_f64 v[4:5], v[120:121], -0.5, v[4:5]
	v_add_f64_e64 v[118:119], v[82:83], -v[22:23]
	v_add_f64_e64 v[120:121], v[76:77], -v[72:73]
	;; [unrolled: 1-line block ×3, first 2 shown]
	v_fma_f64 v[8:9], v[68:69], -0.5, v[8:9]
	scratch_load_b64 v[68:69], off, off offset:8 th:TH_LOAD_LU ; 8-byte Folded Reload
	s_wait_loadcnt 0x1
	v_mul_f64_e32 v[126:127], v[96:97], v[197:198]
	v_fma_f64 v[6:7], v[122:123], -0.5, v[6:7]
	v_add_f64_e64 v[122:123], v[88:89], -v[74:75]
	global_wb scope:SCOPE_SE
	s_wait_loadcnt 0x0
	s_barrier_signal -1
	s_barrier_wait -1
	global_inv scope:SCOPE_SE
	v_fma_f64 v[10:11], v[124:125], -0.5, v[10:11]
	v_add_f64_e64 v[124:125], v[90:91], -v[78:79]
	v_fma_f64 v[0:1], v[64:65], -0.5, v[0:1]
	v_fma_f64 v[2:3], v[66:67], -0.5, v[2:3]
	v_fma_f64 v[66:67], v[96:97], v[195:196], v[70:71]
	v_lshl_add_u32 v97, v219, 3, 0
	v_add3_u32 v96, 0, v157, v158
	v_fma_f64 v[64:65], v[102:103], v[195:196], -v[126:127]
	v_add_f64_e32 v[126:127], v[130:131], v[110:111]
	v_add_f64_e32 v[130:131], v[138:139], v[114:115]
	;; [unrolled: 1-line block ×4, first 2 shown]
	v_fma_f64 v[146:147], v[132:133], s[2:3], v[12:13]
	s_wait_alu 0xfffe
	v_fma_f64 v[12:13], v[132:133], s[6:7], v[12:13]
	v_fma_f64 v[132:133], v[94:95], s[2:3], v[14:15]
	;; [unrolled: 1-line block ×3, first 2 shown]
	v_mul_u32_u24_e32 v103, 0xe10, v217
	v_add_nc_u32_e32 v95, 0xc00, v148
	v_lshl_add_u32 v94, v223, 3, 0
	v_add_nc_u32_e32 v102, 0x1c00, v97
	v_fma_f64 v[155:156], v[122:123], s[2:3], v[10:11]
	v_fma_f64 v[10:11], v[122:123], s[6:7], v[10:11]
	;; [unrolled: 1-line block ×4, first 2 shown]
	v_mul_f64_e32 v[153:154], v[68:69], v[201:202]
	v_fma_f64 v[68:69], v[68:69], v[199:200], v[128:129]
	v_add_f64_e32 v[128:129], v[134:135], v[40:41]
	v_add_f64_e32 v[134:135], v[140:141], v[38:39]
	;; [unrolled: 1-line block ×4, first 2 shown]
	v_fma_f64 v[149:150], v[136:137], s[2:3], v[4:5]
	v_fma_f64 v[4:5], v[136:137], s[6:7], v[4:5]
	;; [unrolled: 1-line block ×8, first 2 shown]
	v_lshlrev_b32_e32 v124, 3, v221
	v_add_nc_u32_e32 v125, 0x2800, v98
	v_fma_f64 v[70:71], v[100:101], v[199:200], -v[153:154]
	v_mul_u32_u24_e32 v100, 0xe10, v182
	v_lshlrev_b32_e32 v101, 3, v218
	s_delay_alu instid0(VALU_DEP_1)
	v_add3_u32 v101, 0, v100, v101
	v_add3_u32 v100, 0, v103, v124
	v_add_nc_u32_e32 v103, 0x3800, v99
	ds_store_2addr_b64 v175, v[126:127], v[146:147] offset1:150
	ds_store_b64 v175, v[12:13] offset:2400
	ds_store_2addr_b64 v96, v[130:131], v[132:133] offset1:150
	ds_store_b64 v96, v[14:15] offset:2400
	ds_store_2addr_b64 v95, v[128:129], v[149:150] offset0:96 offset1:246
	ds_store_b64 v148, v[4:5] offset:6240
	ds_store_2addr_b64 v101, v[134:135], v[136:137] offset1:150
	ds_store_b64 v101, v[6:7] offset:2400
	ds_store_2addr_b64 v102, v[138:139], v[118:119] offset0:4 offset1:154
	ds_store_2addr_b64 v125, v[140:141], v[155:156] offset0:70 offset1:220
	ds_store_b64 v97, v[8:9] offset:9600
	ds_store_b64 v98, v[10:11] offset:13200
	ds_store_2addr_b64 v100, v[142:143], v[120:121] offset1:150
	ds_store_b64 v100, v[0:1] offset:2400
	ds_store_2addr_b64 v103, v[144:145], v[122:123] offset0:8 offset1:158
	ds_store_b64 v99, v[2:3] offset:16800
	s_mov_b32 s1, exec_lo
	v_add_nc_u32_e32 v132, 0xb4, v174
	s_wait_alu 0xfffe
	s_and_b32 s10, s1, s0
	s_wait_alu 0xfffe
	s_mov_b32 exec_lo, s10
	s_cbranch_execz .LBB0_31
; %bb.30:
	v_add_f64_e32 v[0:1], v[66:67], v[68:69]
	v_add_f64_e64 v[2:3], v[64:65], -v[70:71]
	v_add_f64_e32 v[4:5], v[104:105], v[66:67]
	s_delay_alu instid0(VALU_DEP_3) | instskip(NEXT) | instid1(VALU_DEP_2)
	v_fma_f64 v[0:1], v[0:1], -0.5, v[104:105]
	v_add_f64_e32 v[4:5], v[4:5], v[68:69]
	s_delay_alu instid0(VALU_DEP_2)
	v_fma_f64 v[6:7], v[2:3], s[2:3], v[0:1]
	v_fma_f64 v[0:1], v[2:3], s[6:7], v[0:1]
	v_add_nc_u32_e32 v2, 0x3800, v94
	ds_store_2addr_b64 v2, v[4:5], v[6:7] offset0:8 offset1:158
	ds_store_b64 v94, v[0:1] offset:16800
.LBB0_31:
	s_or_b32 exec_lo, exec_lo, s1
	v_add_f64_e32 v[0:1], v[116:117], v[16:17]
	v_add_f64_e32 v[2:3], v[84:85], v[20:21]
	v_add_f64_e32 v[4:5], v[80:81], v[18:19]
	v_add_f64_e32 v[6:7], v[82:83], v[22:23]
	v_add_f64_e32 v[8:9], v[76:77], v[72:73]
	v_add_f64_e32 v[10:11], v[88:89], v[74:75]
	v_add_f64_e32 v[12:13], v[90:91], v[78:79]
	v_add_f64_e32 v[14:15], v[92:93], v[86:87]
	v_add_f64_e32 v[103:104], v[60:61], v[116:117]
	v_add_f64_e64 v[108:109], v[108:109], -v[110:111]
	v_add_f64_e32 v[88:89], v[58:59], v[88:89]
	v_add_f64_e32 v[84:85], v[62:63], v[84:85]
	v_add_f64_e64 v[110:111], v[112:113], -v[114:115]
	v_add_f64_e32 v[76:77], v[56:57], v[76:77]
	v_add_f64_e64 v[32:33], v[32:33], -v[40:41]
	v_add_f64_e32 v[90:91], v[48:49], v[90:91]
	v_add_f64_e32 v[80:81], v[52:53], v[80:81]
	;; [unrolled: 1-line block ×3, first 2 shown]
	v_add_f64_e64 v[34:35], v[34:35], -v[38:39]
	v_add_f64_e32 v[92:93], v[50:51], v[92:93]
	v_add_f64_e64 v[36:37], v[36:37], -v[42:43]
	v_add_f64_e64 v[26:27], v[26:27], -v[44:45]
	;; [unrolled: 1-line block ×4, first 2 shown]
	v_add_nc_u32_e32 v30, 0x800, v175
	v_add_nc_u32_e32 v31, 0x1800, v175
	;; [unrolled: 1-line block ×8, first 2 shown]
	global_wb scope:SCOPE_SE
	s_wait_dscnt 0x0
	s_barrier_signal -1
	s_barrier_wait -1
	global_inv scope:SCOPE_SE
	ds_load_b64 v[130:131], v175 offset:17280
	v_add_nc_u32_e32 v105, 0x2800, v98
	v_fma_f64 v[60:61], v[0:1], -0.5, v[60:61]
	v_fma_f64 v[40:41], v[2:3], -0.5, v[62:63]
	;; [unrolled: 1-line block ×8, first 2 shown]
	v_add_f64_e32 v[48:49], v[103:104], v[16:17]
	ds_load_2addr_b64 v[0:3], v175 offset1:90
	v_add_f64_e32 v[58:59], v[88:89], v[74:75]
	v_add_f64_e32 v[50:51], v[84:85], v[20:21]
	v_add_nc_u32_e32 v116, 0x3800, v99
	v_add_f64_e32 v[56:57], v[76:77], v[72:73]
	v_add_f64_e32 v[62:63], v[90:91], v[78:79]
	;; [unrolled: 1-line block ×5, first 2 shown]
	v_fma_f64 v[74:75], v[108:109], s[6:7], v[60:61]
	v_fma_f64 v[60:61], v[108:109], s[2:3], v[60:61]
	v_fma_f64 v[76:77], v[110:111], s[6:7], v[40:41]
	v_fma_f64 v[78:79], v[110:111], s[2:3], v[40:41]
	v_fma_f64 v[80:81], v[32:33], s[6:7], v[4:5]
	v_fma_f64 v[82:83], v[32:33], s[2:3], v[4:5]
	v_fma_f64 v[84:85], v[34:35], s[6:7], v[6:7]
	v_fma_f64 v[86:87], v[34:35], s[2:3], v[6:7]
	v_fma_f64 v[88:89], v[36:37], s[6:7], v[8:9]
	v_add_nc_u32_e32 v32, 0x2000, v175
	v_add_nc_u32_e32 v33, 0x3c00, v175
	;; [unrolled: 1-line block ×3, first 2 shown]
	v_fma_f64 v[90:91], v[26:27], s[6:7], v[10:11]
	v_fma_f64 v[92:93], v[36:37], s[2:3], v[8:9]
	;; [unrolled: 1-line block ×7, first 2 shown]
	ds_load_2addr_b64 v[8:11], v30 offset0:104 offset1:194
	ds_load_2addr_b64 v[16:19], v31 offset0:132 offset1:222
	;; [unrolled: 1-line block ×11, first 2 shown]
	global_wb scope:SCOPE_SE
	s_wait_dscnt 0x0
	s_barrier_signal -1
	s_barrier_wait -1
	global_inv scope:SCOPE_SE
	ds_store_2addr_b64 v175, v[48:49], v[74:75] offset1:150
	ds_store_b64 v175, v[60:61] offset:2400
	ds_store_2addr_b64 v96, v[50:51], v[76:77] offset1:150
	ds_store_b64 v96, v[78:79] offset:2400
	ds_store_2addr_b64 v95, v[52:53], v[80:81] offset0:96 offset1:246
	ds_store_b64 v148, v[82:83] offset:6240
	ds_store_2addr_b64 v101, v[54:55], v[84:85] offset1:150
	ds_store_b64 v101, v[86:87] offset:2400
	ds_store_2addr_b64 v102, v[56:57], v[88:89] offset0:4 offset1:154
	ds_store_2addr_b64 v105, v[58:59], v[90:91] offset0:70 offset1:220
	ds_store_b64 v97, v[92:93] offset:9600
	ds_store_b64 v98, v[103:104] offset:13200
	ds_store_2addr_b64 v100, v[62:63], v[108:109] offset1:150
	ds_store_b64 v100, v[110:111] offset:2400
	ds_store_2addr_b64 v116, v[72:73], v[112:113] offset0:8 offset1:158
	ds_store_b64 v99, v[114:115] offset:16800
	s_and_saveexec_b32 s1, s0
	s_cbranch_execz .LBB0_33
; %bb.32:
	v_add_f64_e32 v[48:49], v[64:65], v[70:71]
	v_add_f64_e64 v[50:51], v[66:67], -v[68:69]
	v_add_f64_e32 v[52:53], v[106:107], v[64:65]
	s_mov_b32 s3, 0x3febb67a
	s_mov_b32 s2, 0xe8584caa
	s_delay_alu instid0(VALU_DEP_3) | instskip(NEXT) | instid1(VALU_DEP_2)
	v_fma_f64 v[48:49], v[48:49], -0.5, v[106:107]
	v_add_f64_e32 v[52:53], v[52:53], v[70:71]
	s_wait_alu 0xfffe
	s_delay_alu instid0(VALU_DEP_2)
	v_fma_f64 v[54:55], v[50:51], s[2:3], v[48:49]
	s_mov_b32 s3, 0xbfebb67a
	s_wait_alu 0xfffe
	v_fma_f64 v[48:49], v[50:51], s[2:3], v[48:49]
	v_add_nc_u32_e32 v50, 0x3800, v94
	ds_store_2addr_b64 v50, v[52:53], v[54:55] offset0:8 offset1:158
	ds_store_b64 v94, v[48:49] offset:16800
.LBB0_33:
	s_wait_alu 0xfffe
	s_or_b32 exec_lo, exec_lo, s1
	global_wb scope:SCOPE_SE
	s_wait_dscnt 0x0
	s_barrier_signal -1
	s_barrier_wait -1
	global_inv scope:SCOPE_SE
	s_and_saveexec_b32 s0, vcc_lo
	s_cbranch_execz .LBB0_35
; %bb.34:
	v_dual_mov_b32 v129, 0 :: v_dual_lshlrev_b32 v128, 2, v225
	v_mul_hi_u32 v177, 0x91a2b3c5, v132
	v_add_nc_u32_e32 v136, 0x3000, v175
	v_add_nc_u32_e32 v144, 0x1400, v175
	;; [unrolled: 1-line block ×3, first 2 shown]
	v_lshlrev_b64_e32 v[48:49], 4, v[128:129]
	v_lshlrev_b32_e32 v128, 2, v224
	v_add_nc_u32_e32 v152, 0x2000, v175
	v_add_nc_u32_e32 v156, 0x3c00, v175
	;; [unrolled: 1-line block ×4, first 2 shown]
	v_lshlrev_b64_e32 v[50:51], 4, v[128:129]
	v_lshlrev_b32_e32 v128, 2, v132
	v_add_co_u32 v48, vcc_lo, s4, v48
	s_wait_alu 0xfffd
	v_add_co_ci_u32_e32 v49, vcc_lo, s5, v49, vcc_lo
	s_delay_alu instid0(VALU_DEP_3) | instskip(SKIP_4) | instid1(VALU_DEP_3)
	v_lshlrev_b64_e32 v[56:57], 4, v[128:129]
	v_lshlrev_b32_e32 v128, 2, v226
	v_add_co_u32 v58, vcc_lo, s4, v50
	s_wait_alu 0xfffd
	v_add_co_ci_u32_e32 v59, vcc_lo, s5, v51, vcc_lo
	v_lshlrev_b64_e32 v[72:73], 4, v[128:129]
	v_lshlrev_b32_e32 v128, 2, v174
	v_add_co_u32 v88, vcc_lo, s4, v56
	s_wait_alu 0xfffd
	v_add_co_ci_u32_e32 v89, vcc_lo, s5, v57, vcc_lo
	s_delay_alu instid0(VALU_DEP_3)
	v_lshlrev_b64_e32 v[112:113], 4, v[128:129]
	v_add_co_u32 v100, vcc_lo, s4, v72
	s_wait_alu 0xfffd
	v_add_co_ci_u32_e32 v101, vcc_lo, s5, v73, vcc_lo
	s_clause 0x1
	global_load_b128 v[80:83], v[48:49], off offset:7072
	global_load_b128 v[108:111], v[48:49], off offset:7088
	v_add_co_u32 v120, vcc_lo, s4, v112
	s_wait_alu 0xfffd
	v_add_co_ci_u32_e32 v121, vcc_lo, s5, v113, vcc_lo
	s_clause 0x11
	global_load_b128 v[68:71], v[48:49], off offset:7056
	global_load_b128 v[52:55], v[48:49], off offset:7040
	;; [unrolled: 1-line block ×18, first 2 shown]
	scratch_load_b64 v[132:133], off, off offset:16 th:TH_LOAD_LU ; 8-byte Folded Reload
	ds_load_b64 v[172:173], v175 offset:17280
	v_add_nc_u32_e32 v128, 0x2400, v175
	v_add_nc_u32_e32 v164, 0x2800, v175
	;; [unrolled: 1-line block ×4, first 2 shown]
	v_mul_hi_u32 v180, 0x91a2b3c5, v224
	v_mul_hi_u32 v181, 0x91a2b3c5, v225
	s_mov_b32 s6, 0x134454ff
	s_mov_b32 s7, 0x3fee6f0e
	;; [unrolled: 1-line block ×3, first 2 shown]
	s_wait_alu 0xfffe
	s_mov_b32 s10, s6
	s_mov_b32 s2, 0x4755a5e
	s_mov_b32 s3, 0xbfe2cf23
	v_lshrrev_b32_e32 v184, 8, v180
	v_lshrrev_b32_e32 v221, 8, v181
	s_mov_b32 s5, 0x3fe2cf23
	s_wait_alu 0xfffe
	s_mov_b32 s4, s2
	s_mov_b32 s0, 0x372fe950
	;; [unrolled: 1-line block ×3, first 2 shown]
	s_wait_loadcnt 0x13
	v_mul_f64_e32 v[180:181], v[130:131], v[110:111]
	s_wait_dscnt 0x0
	v_mul_f64_e32 v[110:111], v[172:173], v[110:111]
	s_wait_loadcnt 0x12
	v_mul_f64_e32 v[186:187], v[20:21], v[70:71]
	s_wait_loadcnt 0x11
	;; [unrolled: 2-line block ×8, first 2 shown]
	v_add_co_u32 v182, vcc_lo, s8, v132
	s_wait_alu 0xfffd
	v_add_co_ci_u32_e32 v183, vcc_lo, s9, v133, vcc_lo
	ds_load_2addr_b64 v[132:135], v175 offset1:90
	v_mov_b32_e32 v175, v129
	ds_load_2addr_b64 v[136:139], v136 offset0:84 offset1:174
	ds_load_2addr_b64 v[140:143], v128 offset0:108 offset1:198
	;; [unrolled: 1-line block ×7, first 2 shown]
	v_lshrrev_b32_e32 v128, 8, v177
	ds_load_2addr_b64 v[164:167], v164 offset0:160 offset1:250
	ds_load_2addr_b64 v[168:171], v168 offset0:132 offset1:222
	;; [unrolled: 1-line block ×3, first 2 shown]
	v_lshlrev_b64_e32 v[174:175], 4, v[174:175]
	v_mul_f64_e32 v[202:203], v[26:27], v[78:79]
	v_mul_u32_u24_e32 v128, 0x708, v128
	v_mul_f64_e32 v[204:205], v[30:31], v[98:99]
	v_mul_f64_e32 v[206:207], v[32:33], v[74:75]
	;; [unrolled: 1-line block ×3, first 2 shown]
	v_add_co_u32 v174, vcc_lo, v182, v174
	s_wait_alu 0xfffd
	v_add_co_ci_u32_e32 v175, vcc_lo, v183, v175, vcc_lo
	v_lshlrev_b64_e32 v[182:183], 4, v[128:129]
	v_mul_u32_u24_e32 v128, 0x708, v184
	v_mul_f64_e32 v[184:185], v[46:47], v[82:83]
	s_wait_dscnt 0x9
	v_mul_f64_e32 v[82:83], v[138:139], v[82:83]
	s_wait_dscnt 0x8
	;; [unrolled: 2-line block ×3, first 2 shown]
	v_mul_f64_e32 v[54:55], v[146:147], v[54:55]
	v_mul_f64_e32 v[50:51], v[136:137], v[50:51]
	s_wait_dscnt 0x5
	v_mul_f64_e32 v[198:199], v[154:155], v[66:67]
	v_mul_f64_e32 v[62:63], v[144:145], v[62:63]
	s_wait_dscnt 0x4
	;; [unrolled: 3-line block ×3, first 2 shown]
	v_mul_f64_e32 v[98:99], v[166:167], v[98:99]
	v_mul_f64_e32 v[78:79], v[162:163], v[78:79]
	;; [unrolled: 1-line block ×6, first 2 shown]
	s_wait_dscnt 0x1
	v_mul_f64_e32 v[94:95], v[170:171], v[94:95]
	v_mul_f64_e32 v[106:107], v[164:165], v[106:107]
	;; [unrolled: 1-line block ×3, first 2 shown]
	s_wait_dscnt 0x0
	v_mul_f64_e32 v[102:103], v[178:179], v[102:103]
	v_mul_f64_e32 v[216:217], v[16:17], v[114:115]
	;; [unrolled: 1-line block ×3, first 2 shown]
	v_fma_f64 v[172:173], v[108:109], v[172:173], -v[180:181]
	v_mul_f64_e32 v[180:181], v[22:23], v[126:127]
	v_fma_f64 v[108:109], v[130:131], v[108:109], v[110:111]
	v_mul_f64_e32 v[110:111], v[12:13], v[122:123]
	v_mul_f64_e32 v[114:115], v[168:169], v[114:115]
	;; [unrolled: 1-line block ×3, first 2 shown]
	v_fma_f64 v[130:131], v[80:81], v[138:139], -v[184:185]
	v_fma_f64 v[46:47], v[46:47], v[80:81], v[82:83]
	v_mul_f64_e32 v[80:81], v[150:151], v[118:119]
	v_mul_f64_e32 v[82:83], v[176:177], v[122:123]
	v_fma_f64 v[118:119], v[68:69], v[140:141], -v[186:187]
	v_fma_f64 v[122:123], v[52:53], v[146:147], -v[188:189]
	v_fma_f64 v[20:21], v[20:21], v[68:69], v[70:71]
	v_fma_f64 v[42:43], v[42:43], v[52:53], v[54:55]
	v_fma_f64 v[52:53], v[48:49], v[136:137], -v[190:191]
	v_fma_f64 v[44:45], v[44:45], v[48:49], v[50:51]
	v_fma_f64 v[48:49], v[60:61], v[144:145], -v[194:195]
	v_fma_f64 v[50:51], v[64:65], v[154:155], -v[192:193]
	v_fma_f64 v[38:39], v[38:39], v[64:65], v[198:199]
	v_fma_f64 v[54:55], v[56:57], v[158:159], -v[196:197]
	v_fma_f64 v[40:41], v[40:41], v[60:61], v[62:63]
	v_fma_f64 v[34:35], v[34:35], v[56:57], v[58:59]
	v_fma_f64 v[56:57], v[84:85], v[152:153], -v[200:201]
	v_fma_f64 v[58:59], v[76:77], v[162:163], -v[202:203]
	v_fma_f64 v[60:61], v[96:97], v[166:167], -v[204:205]
	v_fma_f64 v[62:63], v[72:73], v[156:157], -v[206:207]
	v_fma_f64 v[36:37], v[36:37], v[84:85], v[86:87]
	v_fma_f64 v[30:31], v[30:31], v[96:97], v[98:99]
	v_fma_f64 v[26:27], v[26:27], v[76:77], v[78:79]
	v_fma_f64 v[32:33], v[32:33], v[72:73], v[74:75]
	v_fma_f64 v[64:65], v[92:93], v[170:171], -v[208:209]
	v_fma_f64 v[70:71], v[88:89], v[160:161], -v[210:211]
	v_fma_f64 v[72:73], v[104:105], v[164:165], -v[212:213]
	v_fma_f64 v[74:75], v[100:101], v[178:179], -v[214:215]
	v_fma_f64 v[18:19], v[18:19], v[92:93], v[94:95]
	v_fma_f64 v[28:29], v[28:29], v[104:105], v[106:107]
	;; [unrolled: 8-line block ×3, first 2 shown]
	ds_load_2addr_b64 v[66:69], v220 offset0:52 offset1:142
	v_add_f64_e64 v[96:97], v[172:173], -v[130:131]
	v_fma_f64 v[10:11], v[10:11], v[116:117], v[80:81]
	v_fma_f64 v[80:81], v[12:13], v[120:121], v[82:83]
	v_add_f64_e32 v[98:99], v[118:119], v[130:131]
	v_add_f64_e32 v[90:91], v[122:123], v[172:173]
	;; [unrolled: 1-line block ×3, first 2 shown]
	v_add_f64_e64 v[12:13], v[118:119], -v[122:123]
	v_add_f64_e64 v[82:83], v[130:131], -v[172:173]
	;; [unrolled: 1-line block ×6, first 2 shown]
	v_add_f64_e32 v[110:111], v[42:43], v[108:109]
	v_add_f64_e64 v[114:115], v[42:43], -v[20:21]
	v_add_f64_e32 v[120:121], v[20:21], v[46:47]
	v_add_f64_e32 v[42:43], v[8:9], v[42:43]
	;; [unrolled: 1-line block ×3, first 2 shown]
	v_add_f64_e64 v[140:141], v[40:41], -v[34:35]
	v_add_f64_e32 v[146:147], v[50:51], v[52:53]
	s_wait_dscnt 0x0
	v_add_f64_e32 v[150:151], v[48:49], v[68:69]
	v_add_f64_e64 v[152:153], v[38:39], -v[40:41]
	v_add_f64_e32 v[156:157], v[40:41], v[34:35]
	v_add_f64_e64 v[160:161], v[40:41], -v[38:39]
	v_add_f64_e32 v[40:41], v[6:7], v[40:41]
	v_add_f64_e32 v[166:167], v[58:59], v[62:63]
	;; [unrolled: 1-line block ×5, first 2 shown]
	v_add_f64_e64 v[106:107], v[122:123], -v[172:173]
	v_add_f64_e64 v[122:123], v[50:51], -v[48:49]
	v_add_f64_e64 v[124:125], v[52:53], -v[54:55]
	v_add_f64_e64 v[142:143], v[48:49], -v[50:51]
	v_add_f64_e64 v[144:145], v[54:55], -v[52:53]
	v_add_f64_e64 v[162:163], v[34:35], -v[44:45]
	v_add_f64_e32 v[208:209], v[70:71], v[74:75]
	v_add_f64_e32 v[214:215], v[64:65], v[72:73]
	;; [unrolled: 1-line block ×4, first 2 shown]
	v_add_f64_e64 v[112:113], v[118:119], -v[130:131]
	v_add_f64_e64 v[154:155], v[44:45], -v[34:35]
	;; [unrolled: 1-line block ×7, first 2 shown]
	v_add_f64_e32 v[26:27], v[4:5], v[26:27]
	v_add_f64_e32 v[216:217], v[70:71], v[134:135]
	;; [unrolled: 1-line block ×4, first 2 shown]
	v_fma_f64 v[90:91], v[90:91], -0.5, v[148:149]
	v_fma_f64 v[98:99], v[98:99], -0.5, v[148:149]
	v_add_f64_e32 v[148:149], v[78:79], v[132:133]
	v_add_f64_e32 v[250:251], v[10:11], v[80:81]
	;; [unrolled: 1-line block ×4, first 2 shown]
	v_add_f64_e64 v[116:117], v[108:109], -v[46:47]
	v_add_f64_e32 v[230:231], v[2:3], v[24:25]
	v_add_f64_e32 v[188:189], v[58:59], v[66:67]
	v_add_f64_e32 v[164:165], v[38:39], v[44:45]
	v_add_f64_e32 v[82:83], v[12:13], v[82:83]
	v_add_f64_e64 v[12:13], v[10:11], -v[16:17]
	v_add_f64_e32 v[96:97], v[94:95], v[96:97]
	v_add_f64_e64 v[94:95], v[80:81], -v[22:23]
	v_add_f64_e32 v[102:103], v[102:103], v[104:105]
	v_add_f64_e32 v[104:105], v[0:1], v[10:11]
	v_add_f64_e64 v[88:89], v[20:21], -v[46:47]
	v_add_f64_e64 v[126:127], v[38:39], -v[44:45]
	v_add_f64_e64 v[158:159], v[50:51], -v[52:53]
	v_add_f64_e64 v[170:171], v[56:57], -v[58:59]
	v_add_f64_e64 v[58:59], v[58:59], -v[62:63]
	v_add_f64_e64 v[200:201], v[32:33], -v[30:31]
	v_fma_f64 v[110:111], v[110:111], -0.5, v[8:9]
	v_fma_f64 v[8:9], v[120:121], -0.5, v[8:9]
	v_add_f64_e32 v[20:21], v[20:21], v[42:43]
	v_fma_f64 v[136:137], v[136:137], -0.5, v[68:69]
	v_fma_f64 v[68:69], v[146:147], -0.5, v[68:69]
	v_add_f64_e32 v[50:51], v[50:51], v[150:151]
	v_add_f64_e32 v[38:39], v[38:39], v[40:41]
	v_fma_f64 v[40:41], v[156:157], -0.5, v[6:7]
	v_fma_f64 v[146:147], v[166:167], -0.5, v[66:67]
	;; [unrolled: 1-line block ×5, first 2 shown]
	v_add_f64_e64 v[204:205], v[64:65], -v[70:71]
	v_add_f64_e64 v[206:207], v[72:73], -v[74:75]
	;; [unrolled: 1-line block ×7, first 2 shown]
	v_add_f64_e32 v[122:123], v[122:123], v[124:125]
	v_add_f64_e32 v[124:125], v[142:143], v[144:145]
	;; [unrolled: 1-line block ×3, first 2 shown]
	v_fma_f64 v[162:163], v[208:209], -0.5, v[134:135]
	v_fma_f64 v[134:135], v[214:215], -0.5, v[134:135]
	v_fma_f64 v[168:169], v[222:223], -0.5, v[2:3]
	v_fma_f64 v[2:3], v[228:229], -0.5, v[2:3]
	v_add_f64_e64 v[232:233], v[18:19], -v[28:29]
	v_add_f64_e64 v[234:235], v[64:65], -v[72:73]
	v_add_f64_e64 v[236:237], v[14:15], -v[78:79]
	v_add_f64_e64 v[242:243], v[78:79], -v[14:15]
	v_add_f64_e64 v[248:249], v[16:17], -v[10:11]
	v_add_f64_e64 v[10:11], v[10:11], -v[80:81]
	v_add_f64_e64 v[78:79], v[78:79], -v[86:87]
	v_add_f64_e64 v[42:43], v[14:15], -v[84:85]
	v_add_f64_e32 v[142:143], v[152:153], v[154:155]
	v_add_f64_e32 v[152:153], v[184:185], v[186:187]
	;; [unrolled: 1-line block ×4, first 2 shown]
	v_fma_f64 v[184:185], v[240:241], -0.5, v[132:133]
	v_fma_f64 v[132:133], v[246:247], -0.5, v[132:133]
	v_add_f64_e32 v[14:15], v[14:15], v[148:149]
	v_fma_f64 v[148:149], v[250:251], -0.5, v[0:1]
	v_fma_f64 v[0:1], v[118:119], -0.5, v[0:1]
	v_add_f64_e64 v[178:179], v[36:37], -v[30:31]
	v_add_f64_e64 v[212:213], v[74:75], -v[72:73]
	v_add_f64_e32 v[114:115], v[114:115], v[116:117]
	v_add_f64_e64 v[116:117], v[16:17], -v[22:23]
	v_add_f64_e32 v[18:19], v[18:19], v[230:231]
	;; [unrolled: 2-line block ×3, first 2 shown]
	v_add_f64_e64 v[48:49], v[48:49], -v[54:55]
	v_add_f64_e64 v[192:193], v[30:31], -v[32:33]
	v_fma_f64 v[6:7], v[164:165], -0.5, v[6:7]
	v_add_f64_e32 v[94:95], v[12:13], v[94:95]
	v_add_f64_e32 v[12:13], v[16:17], v[104:105]
	;; [unrolled: 1-line block ×3, first 2 shown]
	v_fma_f64 v[16:17], v[88:89], s[6:7], v[90:91]
	v_fma_f64 v[90:91], v[88:89], s[10:11], v[90:91]
	;; [unrolled: 1-line block ×3, first 2 shown]
	v_add_f64_e32 v[100:101], v[130:131], v[100:101]
	v_fma_f64 v[118:119], v[112:113], s[10:11], v[110:111]
	v_fma_f64 v[110:111], v[112:113], s[6:7], v[110:111]
	;; [unrolled: 1-line block ×4, first 2 shown]
	v_add_f64_e32 v[20:21], v[20:21], v[46:47]
	v_fma_f64 v[188:189], v[140:141], s[10:11], v[68:69]
	v_fma_f64 v[68:69], v[140:141], s[6:7], v[68:69]
	v_add_f64_e32 v[50:51], v[52:53], v[50:51]
	v_fma_f64 v[52:53], v[158:159], s[10:11], v[40:41]
	v_fma_f64 v[194:195], v[180:181], s[10:11], v[66:67]
	;; [unrolled: 1-line block ×3, first 2 shown]
	v_add_f64_e64 v[176:177], v[60:61], -v[62:63]
	v_add_f64_e64 v[226:227], v[76:77], -v[28:29]
	v_add_f64_e32 v[36:37], v[204:205], v[206:207]
	v_fma_f64 v[46:47], v[126:127], s[6:7], v[136:137]
	v_fma_f64 v[136:137], v[126:127], s[10:11], v[136:137]
	;; [unrolled: 1-line block ×5, first 2 shown]
	v_lshlrev_b64_e32 v[138:139], 4, v[128:129]
	v_mul_u32_u24_e32 v128, 0x708, v221
	v_add_f64_e64 v[220:221], v[28:29], -v[76:77]
	v_add_f64_e64 v[244:245], v[86:87], -v[84:85]
	v_fma_f64 v[98:99], v[92:93], s[6:7], v[98:99]
	v_add_f64_e32 v[26:27], v[26:27], v[30:31]
	v_fma_f64 v[30:31], v[232:233], s[6:7], v[162:163]
	v_fma_f64 v[162:163], v[232:233], s[10:11], v[162:163]
	v_add_f64_e32 v[64:65], v[72:73], v[64:65]
	v_fma_f64 v[72:73], v[234:235], s[10:11], v[168:169]
	v_fma_f64 v[168:169], v[234:235], s[6:7], v[168:169]
	;; [unrolled: 1-line block ×4, first 2 shown]
	v_add_f64_e64 v[238:239], v[84:85], -v[86:87]
	v_add_f64_e64 v[120:121], v[22:23], -v[80:81]
	v_add_f64_e32 v[164:165], v[210:211], v[212:213]
	v_fma_f64 v[40:41], v[158:159], s[6:7], v[40:41]
	v_add_f64_e32 v[38:39], v[38:39], v[44:45]
	v_fma_f64 v[44:45], v[178:179], s[6:7], v[146:147]
	v_fma_f64 v[146:147], v[178:179], s[10:11], v[146:147]
	v_add_f64_e32 v[18:19], v[18:19], v[28:29]
	v_fma_f64 v[28:29], v[116:117], s[6:7], v[184:185]
	v_fma_f64 v[184:185], v[116:117], s[10:11], v[184:185]
	;; [unrolled: 1-line block ×6, first 2 shown]
	v_add_f64_e32 v[84:85], v[84:85], v[14:15]
	v_fma_f64 v[14:15], v[78:79], s[6:7], v[0:1]
	v_fma_f64 v[66:67], v[180:181], s[6:7], v[66:67]
	;; [unrolled: 1-line block ×3, first 2 shown]
	v_add_f64_e32 v[56:57], v[60:61], v[56:57]
	v_fma_f64 v[60:61], v[196:197], s[10:11], v[156:157]
	v_fma_f64 v[156:157], v[196:197], s[6:7], v[156:157]
	v_add_f64_e32 v[154:155], v[190:191], v[192:193]
	v_fma_f64 v[190:191], v[48:49], s[6:7], v[6:7]
	v_fma_f64 v[192:193], v[48:49], s[10:11], v[6:7]
	v_add_f64_e32 v[22:23], v[12:13], v[22:23]
	v_fma_f64 v[212:213], v[92:93], s[2:3], v[16:17]
	s_wait_alu 0xfffe
	v_fma_f64 v[90:91], v[92:93], s[4:5], v[90:91]
	v_fma_f64 v[92:93], v[88:89], s[2:3], v[104:105]
	v_add_f64_e32 v[2:3], v[172:173], v[100:101]
	v_fma_f64 v[100:101], v[106:107], s[4:5], v[118:119]
	v_fma_f64 v[104:105], v[106:107], s[2:3], v[110:111]
	;; [unrolled: 1-line block ×4, first 2 shown]
	v_add_f64_e32 v[0:1], v[20:21], v[108:109]
	v_fma_f64 v[108:109], v[126:127], s[4:5], v[68:69]
	v_fma_f64 v[112:113], v[48:49], s[4:5], v[52:53]
	;; [unrolled: 1-line block ×4, first 2 shown]
	v_add_f64_e32 v[150:151], v[170:171], v[176:177]
	v_add_f64_e32 v[170:171], v[224:225], v[226:227]
	v_fma_f64 v[20:21], v[140:141], s[2:3], v[46:47]
	v_fma_f64 v[46:47], v[140:141], s[4:5], v[136:137]
	;; [unrolled: 1-line block ×4, first 2 shown]
	v_add_f64_e32 v[166:167], v[218:219], v[220:221]
	v_add_f64_e32 v[186:187], v[242:243], v[244:245]
	v_fma_f64 v[98:99], v[88:89], s[4:5], v[98:99]
	v_fma_f64 v[88:89], v[126:127], s[2:3], v[188:189]
	;; [unrolled: 1-line block ×8, first 2 shown]
	v_add_f64_e32 v[176:177], v[236:237], v[238:239]
	v_add_f64_e32 v[120:121], v[248:249], v[120:121]
	v_fma_f64 v[40:41], v[48:49], s[2:3], v[40:41]
	v_fma_f64 v[44:45], v[180:181], s[2:3], v[44:45]
	;; [unrolled: 1-line block ×17, first 2 shown]
	v_add_f64_e32 v[14:15], v[74:75], v[64:65]
	v_add_f64_e32 v[12:13], v[18:19], v[76:77]
	;; [unrolled: 1-line block ×5, first 2 shown]
	v_fma_f64 v[54:55], v[152:153], s[0:1], v[52:53]
	v_fma_f64 v[52:53], v[160:161], s[0:1], v[68:69]
	;; [unrolled: 1-line block ×4, first 2 shown]
	v_add_f64_e32 v[10:11], v[62:63], v[56:57]
	v_add_f64_e32 v[8:9], v[26:27], v[32:33]
	v_fma_f64 v[22:23], v[82:83], s[0:1], v[212:213]
	v_fma_f64 v[26:27], v[82:83], s[0:1], v[90:91]
	;; [unrolled: 1-line block ×9, first 2 shown]
	v_add_f64_e32 v[4:5], v[38:39], v[34:35]
	v_fma_f64 v[38:39], v[122:123], s[0:1], v[46:47]
	v_fma_f64 v[46:47], v[150:151], s[0:1], v[44:45]
	;; [unrolled: 1-line block ×27, first 2 shown]
	v_add_co_u32 v100, vcc_lo, v174, v182
	v_lshlrev_b64_e32 v[102:103], 4, v[128:129]
	s_wait_alu 0xfffd
	v_add_co_ci_u32_e32 v101, vcc_lo, v175, v183, vcc_lo
	v_add_co_u32 v104, vcc_lo, v174, v138
	s_wait_alu 0xfffd
	v_add_co_ci_u32_e32 v105, vcc_lo, v175, v139, vcc_lo
	v_add_co_u32 v102, vcc_lo, v174, v102
	s_wait_alu 0xfffd
	v_add_co_ci_u32_e32 v103, vcc_lo, v175, v103, vcc_lo
	s_clause 0x18
	global_store_b128 v[174:175], v[12:15], off offset:1440
	global_store_b128 v[174:175], v[16:19], off
	global_store_b128 v[100:101], v[52:55], off offset:31680
	global_store_b128 v[174:175], v[68:71], off offset:8640
	;; [unrolled: 1-line block ×23, first 2 shown]
.LBB0_35:
	s_nop 0
	s_sendmsg sendmsg(MSG_DEALLOC_VGPRS)
	s_endpgm
	.section	.rodata,"a",@progbits
	.p2align	6, 0x0
	.amdhsa_kernel fft_rtc_back_len2250_factors_10_3_5_3_5_wgs_90_tpt_90_halfLds_dp_ip_CI_unitstride_sbrr_dirReg
		.amdhsa_group_segment_fixed_size 0
		.amdhsa_private_segment_fixed_size 28
		.amdhsa_kernarg_size 88
		.amdhsa_user_sgpr_count 2
		.amdhsa_user_sgpr_dispatch_ptr 0
		.amdhsa_user_sgpr_queue_ptr 0
		.amdhsa_user_sgpr_kernarg_segment_ptr 1
		.amdhsa_user_sgpr_dispatch_id 0
		.amdhsa_user_sgpr_private_segment_size 0
		.amdhsa_wavefront_size32 1
		.amdhsa_uses_dynamic_stack 0
		.amdhsa_enable_private_segment 1
		.amdhsa_system_sgpr_workgroup_id_x 1
		.amdhsa_system_sgpr_workgroup_id_y 0
		.amdhsa_system_sgpr_workgroup_id_z 0
		.amdhsa_system_sgpr_workgroup_info 0
		.amdhsa_system_vgpr_workitem_id 0
		.amdhsa_next_free_vgpr 256
		.amdhsa_next_free_sgpr 32
		.amdhsa_reserve_vcc 1
		.amdhsa_float_round_mode_32 0
		.amdhsa_float_round_mode_16_64 0
		.amdhsa_float_denorm_mode_32 3
		.amdhsa_float_denorm_mode_16_64 3
		.amdhsa_fp16_overflow 0
		.amdhsa_workgroup_processor_mode 1
		.amdhsa_memory_ordered 1
		.amdhsa_forward_progress 0
		.amdhsa_round_robin_scheduling 0
		.amdhsa_exception_fp_ieee_invalid_op 0
		.amdhsa_exception_fp_denorm_src 0
		.amdhsa_exception_fp_ieee_div_zero 0
		.amdhsa_exception_fp_ieee_overflow 0
		.amdhsa_exception_fp_ieee_underflow 0
		.amdhsa_exception_fp_ieee_inexact 0
		.amdhsa_exception_int_div_zero 0
	.end_amdhsa_kernel
	.text
.Lfunc_end0:
	.size	fft_rtc_back_len2250_factors_10_3_5_3_5_wgs_90_tpt_90_halfLds_dp_ip_CI_unitstride_sbrr_dirReg, .Lfunc_end0-fft_rtc_back_len2250_factors_10_3_5_3_5_wgs_90_tpt_90_halfLds_dp_ip_CI_unitstride_sbrr_dirReg
                                        ; -- End function
	.section	.AMDGPU.csdata,"",@progbits
; Kernel info:
; codeLenInByte = 19648
; NumSgprs: 34
; NumVgprs: 256
; ScratchSize: 28
; MemoryBound: 1
; FloatMode: 240
; IeeeMode: 1
; LDSByteSize: 0 bytes/workgroup (compile time only)
; SGPRBlocks: 4
; VGPRBlocks: 31
; NumSGPRsForWavesPerEU: 34
; NumVGPRsForWavesPerEU: 256
; Occupancy: 5
; WaveLimiterHint : 1
; COMPUTE_PGM_RSRC2:SCRATCH_EN: 1
; COMPUTE_PGM_RSRC2:USER_SGPR: 2
; COMPUTE_PGM_RSRC2:TRAP_HANDLER: 0
; COMPUTE_PGM_RSRC2:TGID_X_EN: 1
; COMPUTE_PGM_RSRC2:TGID_Y_EN: 0
; COMPUTE_PGM_RSRC2:TGID_Z_EN: 0
; COMPUTE_PGM_RSRC2:TIDIG_COMP_CNT: 0
	.text
	.p2alignl 7, 3214868480
	.fill 96, 4, 3214868480
	.type	__hip_cuid_323b0932a7342442,@object ; @__hip_cuid_323b0932a7342442
	.section	.bss,"aw",@nobits
	.globl	__hip_cuid_323b0932a7342442
__hip_cuid_323b0932a7342442:
	.byte	0                               ; 0x0
	.size	__hip_cuid_323b0932a7342442, 1

	.ident	"AMD clang version 19.0.0git (https://github.com/RadeonOpenCompute/llvm-project roc-6.4.0 25133 c7fe45cf4b819c5991fe208aaa96edf142730f1d)"
	.section	".note.GNU-stack","",@progbits
	.addrsig
	.addrsig_sym __hip_cuid_323b0932a7342442
	.amdgpu_metadata
---
amdhsa.kernels:
  - .args:
      - .actual_access:  read_only
        .address_space:  global
        .offset:         0
        .size:           8
        .value_kind:     global_buffer
      - .offset:         8
        .size:           8
        .value_kind:     by_value
      - .actual_access:  read_only
        .address_space:  global
        .offset:         16
        .size:           8
        .value_kind:     global_buffer
      - .actual_access:  read_only
        .address_space:  global
        .offset:         24
        .size:           8
        .value_kind:     global_buffer
      - .offset:         32
        .size:           8
        .value_kind:     by_value
      - .actual_access:  read_only
        .address_space:  global
        .offset:         40
        .size:           8
        .value_kind:     global_buffer
      - .actual_access:  read_only
        .address_space:  global
        .offset:         48
        .size:           8
        .value_kind:     global_buffer
      - .offset:         56
        .size:           4
        .value_kind:     by_value
      - .actual_access:  read_only
        .address_space:  global
        .offset:         64
        .size:           8
        .value_kind:     global_buffer
      - .actual_access:  read_only
        .address_space:  global
        .offset:         72
        .size:           8
        .value_kind:     global_buffer
      - .address_space:  global
        .offset:         80
        .size:           8
        .value_kind:     global_buffer
    .group_segment_fixed_size: 0
    .kernarg_segment_align: 8
    .kernarg_segment_size: 88
    .language:       OpenCL C
    .language_version:
      - 2
      - 0
    .max_flat_workgroup_size: 90
    .name:           fft_rtc_back_len2250_factors_10_3_5_3_5_wgs_90_tpt_90_halfLds_dp_ip_CI_unitstride_sbrr_dirReg
    .private_segment_fixed_size: 28
    .sgpr_count:     34
    .sgpr_spill_count: 0
    .symbol:         fft_rtc_back_len2250_factors_10_3_5_3_5_wgs_90_tpt_90_halfLds_dp_ip_CI_unitstride_sbrr_dirReg.kd
    .uniform_work_group_size: 1
    .uses_dynamic_stack: false
    .vgpr_count:     256
    .vgpr_spill_count: 10
    .wavefront_size: 32
    .workgroup_processor_mode: 1
amdhsa.target:   amdgcn-amd-amdhsa--gfx1201
amdhsa.version:
  - 1
  - 2
...

	.end_amdgpu_metadata
